;; amdgpu-corpus repo=triton-lang/triton kind=triton arch=gfx1100 opt=O3 lang=triton
	.amdgcn_target "amdgcn-amd-amdhsa--gfx1100"
	.amdhsa_code_object_version 5
	.text
	.globl	_attn_bwd                       ; -- Begin function _attn_bwd
	.p2align	8
	.type	_attn_bwd,@function
_attn_bwd:                              ; @_attn_bwd
.Lfunc_begin0:
	.file	1 "/root/src/amdgpu-assembly/repos/triton-lang__triton-aot" "attention_bwd.py"
	.loc	1 126 0                         ; attention_bwd.py:126:0
	.cfi_sections .debug_frame
	.cfi_startproc
; %bb.0:
	s_clause 0x1
	s_load_b64 s[8:9], s[0:1], 0x60
	s_load_b128 s[20:23], s[0:1], 0x50
.Ltmp0:
	.loc	1 144 55 prologue_end           ; attention_bwd.py:144:55
	s_abs_i32 s5, s15
	s_clause 0x1
	s_load_b128 s[16:19], s[0:1], 0x0
	s_load_b64 s[12:13], s[0:1], 0x10
	.loc	1 165 36                        ; attention_bwd.py:165:36
	v_lshrrev_b32_e32 v3, 7, v0
	.loc	1 171 58                        ; attention_bwd.py:171:58
	v_and_b32_e32 v72, 0x7f, v0
	.loc	1 165 36                        ; attention_bwd.py:165:36
	v_and_b32_e32 v99, 0x60, v0
	v_and_b32_e32 v98, 15, v0
	s_delay_alu instid0(VALU_DEP_1) | instskip(SKIP_2) | instid1(SALU_CYCLE_1)
	.loc	1 171 16                        ; attention_bwd.py:171:16
	v_lshlrev_b32_e32 v172, 8, v98
	.loc	1 144 55                        ; attention_bwd.py:144:55
	s_waitcnt lgkmcnt(0)
	s_abs_i32 s2, s8
	v_cvt_f32_u32_e32 v1, s2
	s_sub_i32 s4, 0, s2
	s_delay_alu instid0(VALU_DEP_1) | instskip(SKIP_2) | instid1(VALU_DEP_1)
	v_rcp_iflag_f32_e32 v1, v1
	s_waitcnt_depctr depctr_va_vdst(0)
	v_mul_f32_e32 v1, 0x4f7ffffe, v1
	v_cvt_u32_f32_e32 v1, v1
	s_delay_alu instid0(VALU_DEP_1) | instskip(SKIP_1) | instid1(SALU_CYCLE_1)
	v_readfirstlane_b32 s3, v1
	s_mul_i32 s4, s4, s3
	s_mul_hi_u32 s4, s3, s4
	s_delay_alu instid0(SALU_CYCLE_1) | instskip(SKIP_4) | instid1(SALU_CYCLE_1)
	s_add_i32 s3, s3, s4
	s_xor_b32 s4, s15, s8
	s_mul_hi_u32 s3, s5, s3
	s_ashr_i32 s4, s4, 31
	s_mul_i32 s6, s3, s2
	s_sub_i32 s5, s5, s6
	s_add_i32 s6, s3, 1
	s_sub_i32 s7, s5, s2
	s_cmp_ge_u32 s5, s2
	s_cselect_b32 s3, s6, s3
	s_cselect_b32 s5, s7, s5
	s_add_i32 s6, s3, 1
	s_cmp_ge_u32 s5, s2
	s_cselect_b32 s2, s6, s3
	s_delay_alu instid0(SALU_CYCLE_1) | instskip(NEXT) | instid1(SALU_CYCLE_1)
	s_xor_b32 s2, s2, s4
	s_sub_i32 s2, s2, s4
	s_delay_alu instid0(SALU_CYCLE_1) | instskip(SKIP_2) | instid1(SALU_CYCLE_1)
	.loc	1 144 30 is_stmt 0              ; attention_bwd.py:144:30
	s_mul_i32 s3, s2, s8
	.loc	1 144 47                        ; attention_bwd.py:144:47
	s_mul_i32 s2, s2, s20
	.loc	1 144 30                        ; attention_bwd.py:144:30
	s_sub_i32 s3, s15, s3
	.loc	1 144 23                        ; attention_bwd.py:144:23
	s_mul_i32 s3, s3, s21
	s_delay_alu instid0(SALU_CYCLE_1) | instskip(NEXT) | instid1(SALU_CYCLE_1)
	.loc	1 144 35                        ; attention_bwd.py:144:35
	s_add_i32 s2, s2, s3
	.loc	1 144 62                        ; attention_bwd.py:144:62
	s_ashr_i32 s3, s2, 31
	s_delay_alu instid0(SALU_CYCLE_1) | instskip(NEXT) | instid1(SALU_CYCLE_1)
	.loc	1 148 9 is_stmt 1               ; attention_bwd.py:148:9
	s_lshl_b64 s[34:35], s[2:3], 1
	s_add_u32 s40, s16, s34
	s_addc_u32 s41, s17, s35
	.loc	1 149 9                         ; attention_bwd.py:149:9
	s_add_u32 s38, s18, s34
	s_addc_u32 s39, s19, s35
	.loc	1 150 9                         ; attention_bwd.py:150:9
	s_add_u32 s36, s12, s34
	s_addc_u32 s37, s13, s35
	.loc	1 161 20                        ; attention_bwd.py:161:20
	s_lshl_b32 s33, s14, 6
.Ltmp1:
	.loc	1 47 25                         ; attention_bwd.py:47:25 @[ attention_bwd.py:200:26 ]
	s_cmp_gt_i32 s9, 31
.Ltmp2:
	.loc	1 165 36                        ; attention_bwd.py:165:36
	v_or_b32_e32 v1, s33, v3
.Ltmp3:
	.loc	1 47 25                         ; attention_bwd.py:47:25 @[ attention_bwd.py:200:26 ]
	s_cselect_b32 s3, -1, 0
	s_cmp_lt_i32 s9, 32
	s_delay_alu instid0(VALU_DEP_1)
.Ltmp4:
	.loc	1 165 23                        ; attention_bwd.py:165:23
	v_or_b32_e32 v2, 2, v1
	v_or_b32_e32 v5, 4, v1
	.loc	1 171 38                        ; attention_bwd.py:171:38
	v_mul_lo_u32 v4, s22, v1
	.loc	1 165 23                        ; attention_bwd.py:165:23
	v_or_b32_e32 v7, 6, v1
	v_or_b32_e32 v9, 8, v1
	.loc	1 171 38                        ; attention_bwd.py:171:38
	v_mul_lo_u32 v6, s22, v2
	v_mul_lo_u32 v8, s22, v5
	.loc	1 165 23                        ; attention_bwd.py:165:23
	v_or_b32_e32 v11, 10, v1
	.loc	1 171 38                        ; attention_bwd.py:171:38
	v_mul_lo_u32 v10, s22, v7
	.loc	1 165 23                        ; attention_bwd.py:165:23
	v_or_b32_e32 v13, 12, v1
	.loc	1 171 38                        ; attention_bwd.py:171:38
	v_mul_lo_u32 v12, s22, v9
	.loc	1 171 20 is_stmt 0              ; attention_bwd.py:171:20
	v_ashrrev_i32_e32 v5, 31, v4
	.loc	1 165 23 is_stmt 1              ; attention_bwd.py:165:23
	v_or_b32_e32 v15, 14, v1
	.loc	1 171 38                        ; attention_bwd.py:171:38
	v_mul_lo_u32 v14, s22, v11
	.loc	1 171 20 is_stmt 0              ; attention_bwd.py:171:20
	v_ashrrev_i32_e32 v7, 31, v6
	.loc	1 165 23 is_stmt 1              ; attention_bwd.py:165:23
	v_or_b32_e32 v17, 16, v1
	.loc	1 171 38                        ; attention_bwd.py:171:38
	v_mul_lo_u32 v16, s22, v13
	.loc	1 171 20 is_stmt 0              ; attention_bwd.py:171:20
	v_ashrrev_i32_e32 v9, 31, v8
	.loc	1 165 23 is_stmt 1              ; attention_bwd.py:165:23
	v_or_b32_e32 v19, 18, v1
	.loc	1 171 20                        ; attention_bwd.py:171:20
	v_lshlrev_b64 v[106:107], 1, v[4:5]
	.loc	1 171 38 is_stmt 0              ; attention_bwd.py:171:38
	v_mul_lo_u32 v18, s22, v15
	.loc	1 171 20                        ; attention_bwd.py:171:20
	v_ashrrev_i32_e32 v11, 31, v10
	.loc	1 165 23 is_stmt 1              ; attention_bwd.py:165:23
	v_or_b32_e32 v21, 20, v1
	.loc	1 171 20                        ; attention_bwd.py:171:20
	v_lshlrev_b64 v[235:236], 1, v[6:7]
	.loc	1 171 38 is_stmt 0              ; attention_bwd.py:171:38
	v_mul_lo_u32 v20, s22, v17
	.loc	1 171 20                        ; attention_bwd.py:171:20
	v_ashrrev_i32_e32 v13, 31, v12
	.loc	1 165 23 is_stmt 1              ; attention_bwd.py:165:23
	;; [unrolled: 8-line block ×3, first 2 shown]
	v_or_b32_e32 v25, 24, v1
	.loc	1 171 20                        ; attention_bwd.py:171:20
	v_lshlrev_b64 v[121:122], 1, v[10:11]
	v_add_co_u32 v2, vcc_lo, s38, v106
	.loc	1 171 38 is_stmt 0              ; attention_bwd.py:171:38
	v_mul_lo_u32 v24, s22, v21
	.loc	1 171 20                        ; attention_bwd.py:171:20
	v_ashrrev_i32_e32 v17, 31, v16
	.loc	1 165 23 is_stmt 1              ; attention_bwd.py:165:23
	v_or_b32_e32 v27, 26, v1
	.loc	1 171 20                        ; attention_bwd.py:171:20
	v_lshlrev_b64 v[119:120], 1, v[12:13]
	v_add_co_ci_u32_e64 v6, null, s39, v107, vcc_lo
	v_add_co_u32 v7, vcc_lo, s38, v235
	.loc	1 171 38 is_stmt 0              ; attention_bwd.py:171:38
	v_mul_lo_u32 v26, s22, v23
	.loc	1 171 20                        ; attention_bwd.py:171:20
	v_ashrrev_i32_e32 v19, 31, v18
	.loc	1 165 23 is_stmt 1              ; attention_bwd.py:165:23
	v_or_b32_e32 v29, 28, v1
	.loc	1 171 20                        ; attention_bwd.py:171:20
	v_lshlrev_b64 v[110:111], 1, v[14:15]
	v_add_co_ci_u32_e64 v8, null, s39, v236, vcc_lo
	;; [unrolled: 10-line block ×3, first 2 shown]
	v_add_co_u32 v11, vcc_lo, s38, v121
	.loc	1 171 38 is_stmt 0              ; attention_bwd.py:171:38
	v_mul_lo_u32 v30, s22, v27
	.loc	1 171 20                        ; attention_bwd.py:171:20
	v_ashrrev_i32_e32 v23, 31, v22
	.loc	1 165 23 is_stmt 1              ; attention_bwd.py:165:23
	v_or_b32_e32 v33, 32, v1
	.loc	1 171 20                        ; attention_bwd.py:171:20
	v_add_co_ci_u32_e64 v13, null, s39, v122, vcc_lo
	v_add_co_u32 v14, vcc_lo, s38, v119
	v_lshlrev_b64 v[79:80], 1, v[18:19]
	.loc	1 171 38 is_stmt 0              ; attention_bwd.py:171:38
	v_mul_lo_u32 v32, s22, v29
	.loc	1 171 20                        ; attention_bwd.py:171:20
	v_ashrrev_i32_e32 v25, 31, v24
	.loc	1 165 23 is_stmt 1              ; attention_bwd.py:165:23
	v_or_b32_e32 v35, 34, v1
	.loc	1 171 20                        ; attention_bwd.py:171:20
	v_add_co_ci_u32_e64 v16, null, s39, v120, vcc_lo
	v_add_co_u32 v17, vcc_lo, s38, v110
	v_lshlrev_b64 v[81:82], 1, v[20:21]
	;; [unrolled: 10-line block ×5, first 2 shown]
	.loc	1 171 38 is_stmt 0              ; attention_bwd.py:171:38
	v_mul_lo_u32 v40, s22, v37
	.loc	1 171 20                        ; attention_bwd.py:171:20
	v_ashrrev_i32_e32 v33, 31, v32
	v_add_co_ci_u32_e64 v53, null, s39, v82, vcc_lo
	v_add_co_u32 v54, vcc_lo, s38, v83
	v_lshlrev_b64 v[89:90], 1, v[28:29]
	.loc	1 171 38                        ; attention_bwd.py:171:38
	v_mul_lo_u32 v42, s22, v39
	.loc	1 171 20                        ; attention_bwd.py:171:20
	v_ashrrev_i32_e32 v35, 31, v34
	v_add_co_ci_u32_e64 v55, null, s39, v84, vcc_lo
	v_add_co_u32 v56, vcc_lo, s38, v85
	v_lshlrev_b64 v[91:92], 1, v[30:31]
	.loc	1 171 38                        ; attention_bwd.py:171:38
	v_mul_lo_u32 v44, s22, v41
	.loc	1 171 20                        ; attention_bwd.py:171:20
	v_ashrrev_i32_e32 v37, 31, v36
	v_add_co_ci_u32_e64 v57, null, s39, v86, vcc_lo
	v_add_co_u32 v58, vcc_lo, s38, v87
	v_lshlrev_b64 v[93:94], 1, v[32:33]
	v_ashrrev_i32_e32 v39, 31, v38
	.loc	1 171 69                        ; attention_bwd.py:171:69
	v_mul_lo_u32 v4, s23, v72
	.loc	1 171 20                        ; attention_bwd.py:171:20
	v_add_co_ci_u32_e64 v59, null, s39, v88, vcc_lo
	v_add_co_u32 v60, vcc_lo, s38, v89
	v_lshlrev_b64 v[95:96], 1, v[34:35]
	v_ashrrev_i32_e32 v41, 31, v40
	v_add_co_ci_u32_e64 v61, null, s39, v90, vcc_lo
	v_add_co_u32 v62, vcc_lo, s38, v91
	v_lshlrev_b64 v[100:101], 1, v[36:37]
	v_ashrrev_i32_e32 v43, 31, v42
	;; [unrolled: 4-line block ×3, first 2 shown]
	v_add_co_ci_u32_e64 v65, null, s39, v94, vcc_lo
	v_add_co_u32 v66, vcc_lo, s38, v95
	v_lshlrev_b64 v[136:137], 1, v[40:41]
	.loc	1 171 51                        ; attention_bwd.py:171:51
	v_ashrrev_i32_e32 v5, 31, v4
	.loc	1 171 20                        ; attention_bwd.py:171:20
	v_add_co_ci_u32_e64 v67, null, s39, v96, vcc_lo
	v_add_co_u32 v68, vcc_lo, s38, v100
	v_lshlrev_b64 v[138:139], 1, v[42:43]
	v_add_co_ci_u32_e64 v69, null, s39, v101, vcc_lo
	v_add_co_u32 v70, vcc_lo, s38, v104
	v_lshlrev_b64 v[140:141], 1, v[44:45]
	v_add_co_ci_u32_e64 v71, null, s39, v105, vcc_lo
	v_add_co_u32 v73, vcc_lo, s38, v136
	.loc	1 171 51                        ; attention_bwd.py:171:51
	v_lshlrev_b64 v[102:103], 1, v[4:5]
	.loc	1 171 20                        ; attention_bwd.py:171:20
	v_add_co_ci_u32_e64 v74, null, s39, v137, vcc_lo
	v_add_co_u32 v75, vcc_lo, s38, v138
	s_delay_alu instid0(VALU_DEP_1) | instskip(SKIP_1) | instid1(VALU_DEP_1)
	v_add_co_ci_u32_e64 v76, null, s39, v139, vcc_lo
	v_add_co_u32 v77, vcc_lo, s38, v140
	v_add_co_ci_u32_e64 v78, null, s39, v141, vcc_lo
	.loc	1 171 51                        ; attention_bwd.py:171:51
	v_add_co_u32 v4, vcc_lo, v2, v102
	s_delay_alu instid0(VALU_DEP_1) | instskip(SKIP_1) | instid1(VALU_DEP_1)
	v_add_co_ci_u32_e64 v5, null, v6, v103, vcc_lo
	v_add_co_u32 v6, vcc_lo, v7, v102
	v_add_co_ci_u32_e64 v7, null, v8, v103, vcc_lo
	v_add_co_u32 v8, vcc_lo, v9, v102
	s_delay_alu instid0(VALU_DEP_1) | instskip(SKIP_1) | instid1(VALU_DEP_1)
	v_add_co_ci_u32_e64 v9, null, v10, v103, vcc_lo
	v_add_co_u32 v12, vcc_lo, v11, v102
	v_add_co_ci_u32_e64 v13, null, v13, v103, vcc_lo
	;; [unrolled: 5-line block ×4, first 2 shown]
	v_add_co_u32 v24, vcc_lo, v52, v102
	.loc	1 165 23 is_stmt 1              ; attention_bwd.py:165:23
	v_or_b32_e32 v46, 42, v1
	.loc	1 171 51                        ; attention_bwd.py:171:51
	v_add_co_ci_u32_e64 v25, null, v53, v103, vcc_lo
	v_add_co_u32 v26, vcc_lo, v54, v102
	s_delay_alu instid0(VALU_DEP_1) | instskip(SKIP_1) | instid1(VALU_DEP_1)
	v_add_co_ci_u32_e64 v27, null, v55, v103, vcc_lo
	v_add_co_u32 v28, vcc_lo, v56, v102
	v_add_co_ci_u32_e64 v29, null, v57, v103, vcc_lo
	v_add_co_u32 v30, vcc_lo, v58, v102
	.loc	1 171 38 is_stmt 0              ; attention_bwd.py:171:38
	v_mul_lo_u32 v10, s22, v46
	.loc	1 171 51                        ; attention_bwd.py:171:51
	v_add_co_ci_u32_e64 v31, null, v59, v103, vcc_lo
	v_add_co_u32 v32, vcc_lo, v60, v102
	s_delay_alu instid0(VALU_DEP_1) | instskip(SKIP_1) | instid1(VALU_DEP_1)
	v_add_co_ci_u32_e64 v33, null, v61, v103, vcc_lo
	v_add_co_u32 v34, vcc_lo, v62, v102
	v_add_co_ci_u32_e64 v35, null, v63, v103, vcc_lo
	v_add_co_u32 v36, vcc_lo, v64, v102
	.loc	1 165 23 is_stmt 1              ; attention_bwd.py:165:23
	v_or_b32_e32 v2, 44, v1
	.loc	1 171 51                        ; attention_bwd.py:171:51
	v_add_co_ci_u32_e64 v37, null, v65, v103, vcc_lo
	v_add_co_u32 v38, vcc_lo, v66, v102
	.loc	1 171 20 is_stmt 0              ; attention_bwd.py:171:20
	v_ashrrev_i32_e32 v11, 31, v10
	.loc	1 171 51                        ; attention_bwd.py:171:51
	v_add_co_ci_u32_e64 v39, null, v67, v103, vcc_lo
	v_add_co_u32 v40, vcc_lo, v68, v102
	s_delay_alu instid0(VALU_DEP_1)
	v_add_co_ci_u32_e64 v41, null, v69, v103, vcc_lo
	v_add_co_u32 v42, vcc_lo, v70, v102
	.loc	1 171 38                        ; attention_bwd.py:171:38
	v_mul_lo_u32 v46, s22, v2
	.loc	1 171 51                        ; attention_bwd.py:171:51
	v_add_co_ci_u32_e64 v43, null, v71, v103, vcc_lo
	v_add_co_u32 v44, vcc_lo, v73, v102
	.loc	1 171 20                        ; attention_bwd.py:171:20
	v_lshlrev_b64 v[142:143], 1, v[10:11]
	.loc	1 165 23 is_stmt 1              ; attention_bwd.py:165:23
	v_or_b32_e32 v2, 46, v1
	.loc	1 171 51                        ; attention_bwd.py:171:51
	v_add_co_ci_u32_e64 v45, null, v74, v103, vcc_lo
	v_add_co_u32 v48, vcc_lo, v75, v102
	s_delay_alu instid0(VALU_DEP_1)
	v_add_co_ci_u32_e64 v49, null, v76, v103, vcc_lo
	v_add_co_u32 v50, vcc_lo, v77, v102
	.loc	1 171 38 is_stmt 0              ; attention_bwd.py:171:38
	v_mul_lo_u32 v10, s22, v2
	.loc	1 171 51                        ; attention_bwd.py:171:51
	v_add_co_ci_u32_e64 v51, null, v78, v103, vcc_lo
	.loc	1 171 20                        ; attention_bwd.py:171:20
	v_ashrrev_i32_e32 v47, 31, v46
	v_add_co_u32 v2, vcc_lo, s38, v142
	s_delay_alu instid0(VALU_DEP_1) | instskip(NEXT) | instid1(VALU_DEP_3)
	v_add_co_ci_u32_e64 v11, null, s39, v143, vcc_lo
	v_lshlrev_b64 v[144:145], 1, v[46:47]
	.loc	1 165 23 is_stmt 1              ; attention_bwd.py:165:23
	v_or_b32_e32 v14, 48, v1
	s_delay_alu instid0(VALU_DEP_4) | instskip(NEXT) | instid1(VALU_DEP_1)
	.loc	1 171 51                        ; attention_bwd.py:171:51
	v_add_co_u32 v46, vcc_lo, v2, v102
	v_add_co_ci_u32_e64 v47, null, v11, v103, vcc_lo
	.loc	1 171 20 is_stmt 0              ; attention_bwd.py:171:20
	v_ashrrev_i32_e32 v11, 31, v10
	s_delay_alu instid0(VALU_DEP_4) | instskip(SKIP_1) | instid1(VALU_DEP_1)
	.loc	1 171 38                        ; attention_bwd.py:171:38
	v_mul_lo_u32 v52, s22, v14
	.loc	1 171 20                        ; attention_bwd.py:171:20
	v_add_co_u32 v2, vcc_lo, s38, v144
	v_add_co_ci_u32_e64 v14, null, s39, v145, vcc_lo
	s_delay_alu instid0(VALU_DEP_4) | instskip(SKIP_1) | instid1(VALU_DEP_4)
	v_lshlrev_b64 v[146:147], 1, v[10:11]
	.loc	1 165 23 is_stmt 1              ; attention_bwd.py:165:23
	v_or_b32_e32 v10, 50, v1
	.loc	1 171 51                        ; attention_bwd.py:171:51
	v_add_co_u32 v54, vcc_lo, v2, v102
	s_delay_alu instid0(VALU_DEP_1) | instskip(NEXT) | instid1(VALU_DEP_3)
	v_add_co_ci_u32_e64 v55, null, v14, v103, vcc_lo
	.loc	1 171 38 is_stmt 0              ; attention_bwd.py:171:38
	v_mul_lo_u32 v10, s22, v10
	.loc	1 171 20                        ; attention_bwd.py:171:20
	v_ashrrev_i32_e32 v53, 31, v52
	v_add_co_u32 v2, vcc_lo, s38, v146
	s_delay_alu instid0(VALU_DEP_1) | instskip(NEXT) | instid1(VALU_DEP_3)
	v_add_co_ci_u32_e64 v11, null, s39, v147, vcc_lo
	v_lshlrev_b64 v[148:149], 1, v[52:53]
	.loc	1 165 23 is_stmt 1              ; attention_bwd.py:165:23
	v_or_b32_e32 v14, 52, v1
	s_delay_alu instid0(VALU_DEP_4) | instskip(NEXT) | instid1(VALU_DEP_1)
	.loc	1 171 51                        ; attention_bwd.py:171:51
	v_add_co_u32 v52, vcc_lo, v2, v102
	v_add_co_ci_u32_e64 v53, null, v11, v103, vcc_lo
	.loc	1 171 20 is_stmt 0              ; attention_bwd.py:171:20
	v_ashrrev_i32_e32 v11, 31, v10
	s_delay_alu instid0(VALU_DEP_4) | instskip(SKIP_1) | instid1(VALU_DEP_1)
	.loc	1 171 38                        ; attention_bwd.py:171:38
	v_mul_lo_u32 v56, s22, v14
	.loc	1 171 20                        ; attention_bwd.py:171:20
	v_add_co_u32 v2, vcc_lo, s38, v148
	v_add_co_ci_u32_e64 v14, null, s39, v149, vcc_lo
	s_delay_alu instid0(VALU_DEP_4) | instskip(SKIP_1) | instid1(VALU_DEP_4)
	v_lshlrev_b64 v[150:151], 1, v[10:11]
	.loc	1 165 23 is_stmt 1              ; attention_bwd.py:165:23
	v_or_b32_e32 v10, 54, v1
	.loc	1 171 51                        ; attention_bwd.py:171:51
	v_add_co_u32 v58, vcc_lo, v2, v102
	s_delay_alu instid0(VALU_DEP_1) | instskip(NEXT) | instid1(VALU_DEP_3)
	v_add_co_ci_u32_e64 v59, null, v14, v103, vcc_lo
	.loc	1 171 38 is_stmt 0              ; attention_bwd.py:171:38
	v_mul_lo_u32 v10, s22, v10
	;; [unrolled: 30-line block ×3, first 2 shown]
	.loc	1 171 20                        ; attention_bwd.py:171:20
	v_ashrrev_i32_e32 v61, 31, v60
	v_add_co_u32 v2, vcc_lo, s38, v154
	.loc	1 165 23 is_stmt 1              ; attention_bwd.py:165:23
	v_or_b32_e32 v14, 60, v1
	.loc	1 171 20                        ; attention_bwd.py:171:20
	v_add_co_ci_u32_e64 v11, null, s39, v155, vcc_lo
	.loc	1 165 23                        ; attention_bwd.py:165:23
	v_or_b32_e32 v1, 62, v1
	.loc	1 171 20                        ; attention_bwd.py:171:20
	v_lshlrev_b64 v[156:157], 1, v[60:61]
	.loc	1 171 51 is_stmt 0              ; attention_bwd.py:171:51
	v_add_co_u32 v60, vcc_lo, v2, v102
	.loc	1 171 38                        ; attention_bwd.py:171:38
	v_mul_lo_u32 v64, s22, v14
	.loc	1 171 51                        ; attention_bwd.py:171:51
	v_add_co_ci_u32_e64 v61, null, v11, v103, vcc_lo
	.loc	1 171 20                        ; attention_bwd.py:171:20
	v_ashrrev_i32_e32 v11, 31, v10
	.loc	1 171 38                        ; attention_bwd.py:171:38
	v_mul_lo_u32 v1, s22, v1
	.loc	1 171 20                        ; attention_bwd.py:171:20
	v_add_co_u32 v2, vcc_lo, s38, v156
	s_delay_alu instid0(VALU_DEP_1) | instskip(NEXT) | instid1(VALU_DEP_4)
	v_add_co_ci_u32_e64 v14, null, s39, v157, vcc_lo
	v_lshlrev_b64 v[158:159], 1, v[10:11]
	v_ashrrev_i32_e32 v65, 31, v64
	s_delay_alu instid0(VALU_DEP_4)
	.loc	1 171 51                        ; attention_bwd.py:171:51
	v_add_co_u32 v66, vcc_lo, v2, v102
	.loc	1 171 20                        ; attention_bwd.py:171:20
	v_ashrrev_i32_e32 v2, 31, v1
	.loc	1 171 51                        ; attention_bwd.py:171:51
	v_add_co_ci_u32_e64 v67, null, v14, v103, vcc_lo
	.loc	1 171 20                        ; attention_bwd.py:171:20
	v_add_co_u32 v10, vcc_lo, s38, v158
	v_lshlrev_b64 v[160:161], 1, v[64:65]
	v_add_co_ci_u32_e64 v11, null, s39, v159, vcc_lo
	v_lshlrev_b64 v[162:163], 1, v[1:2]
	s_delay_alu instid0(VALU_DEP_4) | instskip(NEXT) | instid1(VALU_DEP_1)
	.loc	1 171 51                        ; attention_bwd.py:171:51
	v_add_co_u32 v64, vcc_lo, v10, v102
	v_add_co_ci_u32_e64 v65, null, v11, v103, vcc_lo
	.loc	1 171 20                        ; attention_bwd.py:171:20
	v_add_co_u32 v1, vcc_lo, s38, v160
	s_delay_alu instid0(VALU_DEP_1) | instskip(SKIP_1) | instid1(VALU_DEP_1)
	v_add_co_ci_u32_e64 v2, null, s39, v161, vcc_lo
	v_add_co_u32 v10, vcc_lo, s38, v162
	v_add_co_ci_u32_e64 v11, null, s39, v163, vcc_lo
	s_delay_alu instid0(VALU_DEP_4) | instskip(NEXT) | instid1(VALU_DEP_1)
	.loc	1 171 51                        ; attention_bwd.py:171:51
	v_add_co_u32 v68, vcc_lo, v1, v102
	v_add_co_ci_u32_e64 v69, null, v2, v103, vcc_lo
	s_delay_alu instid0(VALU_DEP_4) | instskip(NEXT) | instid1(VALU_DEP_1)
	v_add_co_u32 v70, vcc_lo, v10, v102
	v_add_co_ci_u32_e64 v71, null, v11, v103, vcc_lo
	.loc	1 171 16                        ; attention_bwd.py:171:16
	s_clause 0x1f
	global_load_u16 v17, v[4:5], off
	global_load_u16 v14, v[6:7], off
	;; [unrolled: 1-line block ×32, first 2 shown]
	.loc	1 165 36 is_stmt 1              ; attention_bwd.py:165:36
	v_bfe_i32 v34, v0, 7, 1
	.loc	1 171 16                        ; attention_bwd.py:171:16
	v_lshlrev_b32_e32 v35, 1, v72
	v_lshlrev_b32_e32 v36, 7, v99
	;; [unrolled: 1-line block ×3, first 2 shown]
	s_clause 0x3                            ; 32-byte Folded Spill
	scratch_store_b64 off, v[79:80], off offset:2096
	scratch_store_b64 off, v[81:82], off offset:2104
	;; [unrolled: 1-line block ×4, first 2 shown]
	v_and_b32_e32 v34, 0x110, v34
	s_clause 0x3                            ; 32-byte Folded Spill
	scratch_store_b64 off, v[87:88], off offset:2148
	scratch_store_b64 off, v[89:90], off offset:2156
	;; [unrolled: 1-line block ×4, first 2 shown]
	v_xor_b32_e32 v34, v34, v35
	v_or3_b32 v35, v36, v37, v172
	s_clause 0x3                            ; 32-byte Folded Spill
	scratch_store_b64 off, v[95:96], off offset:2248
	scratch_store_b64 off, v[100:101], off offset:2256
	scratch_store_b64 off, v[104:105], off offset:2264
	scratch_store_b64 off, v[136:137], off offset:2272
	v_add_nc_u32_e32 v164, 0, v34
	v_xor_b32_e32 v36, 32, v34
	v_xor_b32_e32 v37, 64, v34
	;; [unrolled: 1-line block ×7, first 2 shown]
	v_add_nc_u32_e32 v112, 0, v35
	v_xor_b32_e32 v42, 16, v35
	v_xor_b32_e32 v43, 32, v35
	;; [unrolled: 1-line block ×3, first 2 shown]
	v_add_nc_u32_e32 v165, 0, v34
	.loc	1 172 20                        ; attention_bwd.py:172:20
	v_add_co_u32 v34, vcc_lo, s36, v106
	.loc	1 171 16                        ; attention_bwd.py:171:16
	v_xor_b32_e32 v45, 64, v35
	v_xor_b32_e32 v46, 0x50, v35
	v_xor_b32_e32 v47, 0x60, v35
	v_xor_b32_e32 v48, 0x70, v35
	v_xor_b32_e32 v49, 0x80, v35
	v_xor_b32_e32 v50, 0x90, v35
	v_xor_b32_e32 v51, 0xa0, v35
	v_xor_b32_e32 v52, 0xb0, v35
	v_xor_b32_e32 v53, 0xc0, v35
	v_xor_b32_e32 v54, 0xd0, v35
	v_xor_b32_e32 v55, 0xe0, v35
	v_xor_b32_e32 v35, 0xf0, v35
	v_add_nc_u32_e32 v171, 0, v36
	.loc	1 172 20                        ; attention_bwd.py:172:20
	v_add_co_ci_u32_e64 v36, null, s37, v107, vcc_lo
	.loc	1 172 51 is_stmt 0              ; attention_bwd.py:172:51
	v_add_co_u32 v34, vcc_lo, v34, v102
	s_delay_alu instid0(VALU_DEP_4) | instskip(NEXT) | instid1(VALU_DEP_3)
	.loc	1 171 16 is_stmt 1              ; attention_bwd.py:171:16
	v_add_nc_u32_e32 v135, 0, v35
	.loc	1 172 51                        ; attention_bwd.py:172:51
	v_add_co_ci_u32_e64 v35, null, v36, v103, vcc_lo
	.loc	1 172 20 is_stmt 0              ; attention_bwd.py:172:20
	v_add_co_u32 v36, vcc_lo, s36, v235
	.loc	1 171 16 is_stmt 1              ; attention_bwd.py:171:16
	v_add_nc_u32_e32 v170, 0, v37
	v_add_nc_u32_e32 v169, 0, v38
	.loc	1 172 20                        ; attention_bwd.py:172:20
	v_add_co_ci_u32_e64 v37, null, s37, v236, vcc_lo
	v_add_co_u32 v38, vcc_lo, s36, v123
	.loc	1 171 16                        ; attention_bwd.py:171:16
	v_add_nc_u32_e32 v168, 0, v39
	v_add_nc_u32_e32 v167, 0, v40
	.loc	1 172 20                        ; attention_bwd.py:172:20
	v_add_co_ci_u32_e64 v39, null, s37, v124, vcc_lo
	v_add_co_u32 v40, vcc_lo, s36, v121
	.loc	1 171 16                        ; attention_bwd.py:171:16
	;; [unrolled: 6-line block ×9, first 2 shown]
	v_add_nc_u32_e32 v134, 0, v55
	.loc	1 172 20                        ; attention_bwd.py:172:20
	v_add_co_ci_u32_e64 v55, null, s37, v86, vcc_lo
	v_add_co_u32 v56, vcc_lo, s36, v87
	s_delay_alu instid0(VALU_DEP_1) | instskip(SKIP_1) | instid1(VALU_DEP_1)
	v_add_co_ci_u32_e64 v57, null, s37, v88, vcc_lo
	v_add_co_u32 v58, vcc_lo, s36, v89
	v_add_co_ci_u32_e64 v59, null, s37, v90, vcc_lo
	v_add_co_u32 v60, vcc_lo, s36, v91
	s_delay_alu instid0(VALU_DEP_1) | instskip(SKIP_1) | instid1(VALU_DEP_1)
	v_add_co_ci_u32_e64 v61, null, s37, v92, vcc_lo
	v_add_co_u32 v62, vcc_lo, s36, v93
	;; [unrolled: 5-line block ×10, first 2 shown]
	v_add_co_ci_u32_e64 v95, null, s37, v161, vcc_lo
	v_add_co_u32 v96, vcc_lo, s36, v162
	s_delay_alu instid0(VALU_DEP_1) | instskip(SKIP_1) | instid1(VALU_DEP_1)
	v_add_co_ci_u32_e64 v97, null, s37, v163, vcc_lo
	.loc	1 172 51 is_stmt 0              ; attention_bwd.py:172:51
	v_add_co_u32 v36, vcc_lo, v36, v102
	v_add_co_ci_u32_e64 v37, null, v37, v103, vcc_lo
	v_add_co_u32 v38, vcc_lo, v38, v102
	s_delay_alu instid0(VALU_DEP_1) | instskip(SKIP_1) | instid1(VALU_DEP_1)
	v_add_co_ci_u32_e64 v39, null, v39, v103, vcc_lo
	v_add_co_u32 v40, vcc_lo, v40, v102
	v_add_co_ci_u32_e64 v41, null, v41, v103, vcc_lo
	v_add_co_u32 v42, vcc_lo, v42, v102
	s_delay_alu instid0(VALU_DEP_1) | instskip(SKIP_1) | instid1(VALU_DEP_1)
	v_add_co_ci_u32_e64 v43, null, v43, v103, vcc_lo
	;; [unrolled: 5-line block ×14, first 2 shown]
	v_add_co_u32 v92, vcc_lo, v92, v102
	v_add_co_ci_u32_e64 v93, null, v93, v103, vcc_lo
	v_add_co_u32 v94, vcc_lo, v94, v102
	s_delay_alu instid0(VALU_DEP_1)
	v_add_co_ci_u32_e64 v95, null, v95, v103, vcc_lo
	v_add_co_u32 v96, vcc_lo, v96, v102
	s_clause 0xc                            ; 104-byte Folded Spill
	scratch_store_b64 off, v[138:139], off offset:2304
	scratch_store_b64 off, v[140:141], off offset:2312
	;; [unrolled: 1-line block ×13, first 2 shown]
	v_add_co_ci_u32_e64 v97, null, v97, v103, vcc_lo
	.loc	1 171 16 is_stmt 1              ; attention_bwd.py:171:16
	s_waitcnt vmcnt(31)
	ds_store_b16 v164, v17
	s_waitcnt vmcnt(23)
	ds_store_b16 v164, v25 offset:4096
	s_waitcnt vmcnt(15)
	ds_store_b16 v164, v30 offset:8192
	;; [unrolled: 2-line block ×3, first 2 shown]
	ds_store_b16 v171, v14 offset:512
	ds_store_b16 v171, v22 offset:4608
	ds_store_b16 v171, v28 offset:8704
	s_waitcnt vmcnt(6)
	ds_store_b16 v171, v32 offset:12800
	ds_store_b16 v170, v11 offset:1024
	ds_store_b16 v170, v19 offset:5120
	ds_store_b16 v170, v26 offset:9216
	s_waitcnt vmcnt(5)
	ds_store_b16 v170, v31 offset:13312
	;; [unrolled: 5-line block ×7, first 2 shown]
.Ltmp5:
	.loc	1 41 25                         ; attention_bwd.py:41:25 @[ attention_bwd.py:200:26 ]
	v_and_b32_e32 v1, 31, v0
	.loc	1 41 56 is_stmt 0               ; attention_bwd.py:41:56 @[ attention_bwd.py:200:26 ]
	v_lshrrev_b32_e32 v4, 5, v0
	v_mov_b32_e32 v33, 0
	s_delay_alu instid0(VALU_DEP_3) | instskip(NEXT) | instid1(VALU_DEP_3)
	.loc	1 41 36                         ; attention_bwd.py:41:36 @[ attention_bwd.py:200:26 ]
	v_mul_lo_u32 v5, s22, v1
	.loc	1 41 67                         ; attention_bwd.py:41:67 @[ attention_bwd.py:200:26 ]
	v_mul_lo_u32 v1, s23, v4
	s_delay_alu instid0(VALU_DEP_2) | instskip(NEXT) | instid1(VALU_DEP_2)
	.loc	1 41 18                         ; attention_bwd.py:41:18 @[ attention_bwd.py:200:26 ]
	v_ashrrev_i32_e32 v6, 31, v5
	.loc	1 41 49                         ; attention_bwd.py:41:49 @[ attention_bwd.py:200:26 ]
	v_ashrrev_i32_e32 v2, 31, v1
.Ltmp6:
	.loc	1 171 16 is_stmt 1              ; attention_bwd.py:171:16
	s_waitcnt lgkmcnt(0)
	s_waitcnt_vscnt null, 0x0
	s_barrier
	buffer_gl0_inv
	.loc	1 172 16                        ; attention_bwd.py:172:16
	s_clause 0x1f
	global_load_u16 v7, v[34:35], off
	global_load_u16 v8, v[36:37], off
	;; [unrolled: 1-line block ×32, first 2 shown]
	.loc	1 171 16                        ; attention_bwd.py:171:16
	ds_load_b128 v[87:90], v112
	ds_load_b128 v[91:94], v113
	;; [unrolled: 1-line block ×16, first 2 shown]
.Ltmp7:
	.loc	1 41 18                         ; attention_bwd.py:41:18 @[ attention_bwd.py:200:26 ]
	v_lshlrev_b64 v[81:82], 1, v[5:6]
	v_lshlrev_b64 v[83:84], 1, v[1:2]
	v_mov_b32_e32 v34, 0
	s_waitcnt lgkmcnt(1)
	scratch_store_b128 off, v[136:139], off offset:1624 ; 16-byte Folded Spill
	s_waitcnt lgkmcnt(0)
	scratch_store_b128 off, v[140:143], off offset:1640 ; 16-byte Folded Spill
	v_add_co_u32 v2, vcc_lo, s40, v81
	s_delay_alu instid0(VALU_DEP_1)
	v_add_co_ci_u32_e64 v5, null, s41, v82, vcc_lo
.Ltmp8:
	.loc	1 172 16                        ; attention_bwd.py:172:16
	s_waitcnt vmcnt(0)
	s_waitcnt_vscnt null, 0x0
	s_barrier
	buffer_gl0_inv
	ds_store_b16 v164, v7
	ds_store_b16 v164, v15 offset:4096
	ds_store_b16 v164, v23 offset:8192
	s_clause 0x7                            ; 32-byte Folded Spill
	scratch_store_b32 off, v164, off offset:2432
	scratch_store_b32 off, v171, off offset:2460
	;; [unrolled: 1-line block ×8, first 2 shown]
	ds_store_b16 v164, v31 offset:12288
	ds_store_b16 v171, v8 offset:512
	;; [unrolled: 1-line block ×29, first 2 shown]
	s_waitcnt lgkmcnt(0)
	s_waitcnt_vscnt null, 0x0
	s_barrier
	buffer_gl0_inv
.Ltmp9:
	.loc	1 48 21                         ; attention_bwd.py:48:21 @[ attention_bwd.py:200:26 ]
	s_cbranch_scc1 .LBB0_2
; %bb.1:
	.loc	1 41 49                         ; attention_bwd.py:41:49 @[ attention_bwd.py:200:26 ]
	v_add_co_u32 v6, vcc_lo, v2, v83
	s_delay_alu instid0(VALU_DEP_1)
	v_add_co_ci_u32_e64 v7, null, v5, v84, vcc_lo
	.loc	1 48 21                         ; attention_bwd.py:48:21 @[ attention_bwd.py:200:26 ]
	global_load_u16 v34, v[6:7], off
.LBB0_2:
	.loc	1 41 67                         ; attention_bwd.py:41:67 @[ attention_bwd.py:200:26 ]
	v_lshl_add_u32 v6, s23, 3, v1
	.loc	1 48 21                         ; attention_bwd.py:48:21 @[ attention_bwd.py:200:26 ]
	v_cndmask_b32_e64 v8, 0, 1, s3
	s_and_not1_b32 vcc_lo, exec_lo, s3
	s_delay_alu instid0(VALU_DEP_2) | instskip(NEXT) | instid1(VALU_DEP_2)
	.loc	1 41 49                         ; attention_bwd.py:41:49 @[ attention_bwd.py:200:26 ]
	v_ashrrev_i32_e32 v7, 31, v6
	.loc	1 48 21                         ; attention_bwd.py:48:21 @[ attention_bwd.py:200:26 ]
	v_cmp_ne_u32_e64 s2, 1, v8
	s_delay_alu instid0(VALU_DEP_2)
	v_lshlrev_b64 v[85:86], 1, v[6:7]
	s_cbranch_vccnz .LBB0_4
; %bb.3:
	.loc	1 0 21 is_stmt 0                ; attention_bwd.py:0:21
	s_delay_alu instid0(VALU_DEP_1) | instskip(NEXT) | instid1(VALU_DEP_1)
	.loc	1 41 49 is_stmt 1               ; attention_bwd.py:41:49 @[ attention_bwd.py:200:26 ]
	v_add_co_u32 v6, vcc_lo, v2, v85
	v_add_co_ci_u32_e64 v7, null, v5, v86, vcc_lo
	.loc	1 48 21                         ; attention_bwd.py:48:21 @[ attention_bwd.py:200:26 ]
	global_load_u16 v33, v[6:7], off
.LBB0_4:
	.loc	1 41 67                         ; attention_bwd.py:41:67 @[ attention_bwd.py:200:26 ]
	v_lshl_add_u32 v6, s23, 4, v1
	s_clause 0x1                            ; 32-byte Folded Spill
	scratch_store_b128 off, v[87:90], off offset:1912
	scratch_store_b128 off, v[91:94], off offset:1928
	v_dual_mov_b32 v35, 0 :: v_dual_mov_b32 v36, 0
	.loc	1 48 21                         ; attention_bwd.py:48:21 @[ attention_bwd.py:200:26 ]
	s_and_b32 vcc_lo, exec_lo, s2
	.loc	1 41 49                         ; attention_bwd.py:41:49 @[ attention_bwd.py:200:26 ]
	v_ashrrev_i32_e32 v7, 31, v6
	s_delay_alu instid0(VALU_DEP_1)
	v_lshlrev_b64 v[87:88], 1, v[6:7]
	.loc	1 48 21                         ; attention_bwd.py:48:21 @[ attention_bwd.py:200:26 ]
	s_cbranch_vccnz .LBB0_6
; %bb.5:
	.loc	1 0 21 is_stmt 0                ; attention_bwd.py:0:21
	s_delay_alu instid0(VALU_DEP_1) | instskip(NEXT) | instid1(VALU_DEP_1)
	.loc	1 41 49 is_stmt 1               ; attention_bwd.py:41:49 @[ attention_bwd.py:200:26 ]
	v_add_co_u32 v6, vcc_lo, v2, v87
	v_add_co_ci_u32_e64 v7, null, v5, v88, vcc_lo
	.loc	1 48 21                         ; attention_bwd.py:48:21 @[ attention_bwd.py:200:26 ]
	global_load_u16 v36, v[6:7], off
.LBB0_6:
	.loc	1 41 56                         ; attention_bwd.py:41:56 @[ attention_bwd.py:200:26 ]
	v_or_b32_e32 v6, 24, v4
	.loc	1 48 21                         ; attention_bwd.py:48:21 @[ attention_bwd.py:200:26 ]
	s_and_b32 vcc_lo, exec_lo, s2
	s_delay_alu instid0(VALU_DEP_1) | instskip(NEXT) | instid1(VALU_DEP_1)
	.loc	1 41 67                         ; attention_bwd.py:41:67 @[ attention_bwd.py:200:26 ]
	v_mul_lo_u32 v6, s23, v6
	.loc	1 41 49 is_stmt 0               ; attention_bwd.py:41:49 @[ attention_bwd.py:200:26 ]
	v_ashrrev_i32_e32 v7, 31, v6
	s_delay_alu instid0(VALU_DEP_1)
	v_lshlrev_b64 v[89:90], 1, v[6:7]
	.loc	1 48 21 is_stmt 1               ; attention_bwd.py:48:21 @[ attention_bwd.py:200:26 ]
	s_cbranch_vccnz .LBB0_8
; %bb.7:
	.loc	1 0 21 is_stmt 0                ; attention_bwd.py:0:21
	s_delay_alu instid0(VALU_DEP_1) | instskip(NEXT) | instid1(VALU_DEP_1)
	.loc	1 41 49 is_stmt 1               ; attention_bwd.py:41:49 @[ attention_bwd.py:200:26 ]
	v_add_co_u32 v6, vcc_lo, v2, v89
	v_add_co_ci_u32_e64 v7, null, v5, v90, vcc_lo
	.loc	1 48 21                         ; attention_bwd.py:48:21 @[ attention_bwd.py:200:26 ]
	global_load_u16 v35, v[6:7], off
.LBB0_8:
	.loc	1 41 67                         ; attention_bwd.py:41:67 @[ attention_bwd.py:200:26 ]
	v_lshl_add_u32 v6, s23, 5, v1
	v_dual_mov_b32 v37, 0 :: v_dual_mov_b32 v38, 0
	.loc	1 48 21                         ; attention_bwd.py:48:21 @[ attention_bwd.py:200:26 ]
	s_and_b32 vcc_lo, exec_lo, s2
	s_delay_alu instid0(VALU_DEP_2) | instskip(NEXT) | instid1(VALU_DEP_1)
	.loc	1 41 49                         ; attention_bwd.py:41:49 @[ attention_bwd.py:200:26 ]
	v_ashrrev_i32_e32 v7, 31, v6
	v_lshlrev_b64 v[91:92], 1, v[6:7]
	.loc	1 48 21                         ; attention_bwd.py:48:21 @[ attention_bwd.py:200:26 ]
	s_cbranch_vccnz .LBB0_10
; %bb.9:
	.loc	1 0 21 is_stmt 0                ; attention_bwd.py:0:21
	s_delay_alu instid0(VALU_DEP_1) | instskip(NEXT) | instid1(VALU_DEP_1)
	.loc	1 41 49 is_stmt 1               ; attention_bwd.py:41:49 @[ attention_bwd.py:200:26 ]
	v_add_co_u32 v6, vcc_lo, v2, v91
	v_add_co_ci_u32_e64 v7, null, v5, v92, vcc_lo
	.loc	1 48 21                         ; attention_bwd.py:48:21 @[ attention_bwd.py:200:26 ]
	global_load_u16 v38, v[6:7], off
.LBB0_10:
	.loc	1 41 67                         ; attention_bwd.py:41:67 @[ attention_bwd.py:200:26 ]
	v_mad_u64_u32 v[6:7], null, s23, 40, v[1:2]
	.loc	1 48 21                         ; attention_bwd.py:48:21 @[ attention_bwd.py:200:26 ]
	s_and_b32 vcc_lo, exec_lo, s2
	.loc	1 41 49                         ; attention_bwd.py:41:49 @[ attention_bwd.py:200:26 ]
	v_ashrrev_i32_e32 v7, 31, v6
	s_delay_alu instid0(VALU_DEP_1)
	v_lshlrev_b64 v[93:94], 1, v[6:7]
	.loc	1 48 21                         ; attention_bwd.py:48:21 @[ attention_bwd.py:200:26 ]
	s_cbranch_vccnz .LBB0_12
; %bb.11:
	.loc	1 0 21 is_stmt 0                ; attention_bwd.py:0:21
	s_delay_alu instid0(VALU_DEP_1) | instskip(NEXT) | instid1(VALU_DEP_1)
	.loc	1 41 49 is_stmt 1               ; attention_bwd.py:41:49 @[ attention_bwd.py:200:26 ]
	v_add_co_u32 v6, vcc_lo, v2, v93
	v_add_co_ci_u32_e64 v7, null, v5, v94, vcc_lo
	.loc	1 48 21                         ; attention_bwd.py:48:21 @[ attention_bwd.py:200:26 ]
	global_load_u16 v37, v[6:7], off
.LBB0_12:
	.loc	1 41 67                         ; attention_bwd.py:41:67 @[ attention_bwd.py:200:26 ]
	v_mad_u64_u32 v[6:7], null, s23, 48, v[1:2]
	v_dual_mov_b32 v39, 0 :: v_dual_mov_b32 v40, 0
	.loc	1 48 21                         ; attention_bwd.py:48:21 @[ attention_bwd.py:200:26 ]
	s_and_b32 vcc_lo, exec_lo, s2
	s_delay_alu instid0(VALU_DEP_2) | instskip(NEXT) | instid1(VALU_DEP_1)
	.loc	1 41 49                         ; attention_bwd.py:41:49 @[ attention_bwd.py:200:26 ]
	v_ashrrev_i32_e32 v7, 31, v6
	v_lshlrev_b64 v[95:96], 1, v[6:7]
	.loc	1 48 21                         ; attention_bwd.py:48:21 @[ attention_bwd.py:200:26 ]
	s_cbranch_vccnz .LBB0_14
; %bb.13:
	.loc	1 0 21 is_stmt 0                ; attention_bwd.py:0:21
	s_delay_alu instid0(VALU_DEP_1) | instskip(NEXT) | instid1(VALU_DEP_1)
	.loc	1 41 49 is_stmt 1               ; attention_bwd.py:41:49 @[ attention_bwd.py:200:26 ]
	v_add_co_u32 v6, vcc_lo, v2, v95
	v_add_co_ci_u32_e64 v7, null, v5, v96, vcc_lo
	.loc	1 48 21                         ; attention_bwd.py:48:21 @[ attention_bwd.py:200:26 ]
	global_load_u16 v40, v[6:7], off
.LBB0_14:
	.loc	1 41 56                         ; attention_bwd.py:41:56 @[ attention_bwd.py:200:26 ]
	v_or_b32_e32 v6, 56, v4
	.loc	1 48 21                         ; attention_bwd.py:48:21 @[ attention_bwd.py:200:26 ]
	s_and_b32 vcc_lo, exec_lo, s2
	s_clause 0x1                            ; 32-byte Folded Spill
	scratch_store_b128 off, v[41:44], off offset:1752
	scratch_store_b128 off, v[45:48], off offset:1768
	.loc	1 41 67                         ; attention_bwd.py:41:67 @[ attention_bwd.py:200:26 ]
	v_mul_lo_u32 v6, s23, v6
	s_delay_alu instid0(VALU_DEP_1) | instskip(NEXT) | instid1(VALU_DEP_1)
	.loc	1 41 49 is_stmt 0               ; attention_bwd.py:41:49 @[ attention_bwd.py:200:26 ]
	v_ashrrev_i32_e32 v7, 31, v6
	v_lshlrev_b64 v[100:101], 1, v[6:7]
	.loc	1 48 21 is_stmt 1               ; attention_bwd.py:48:21 @[ attention_bwd.py:200:26 ]
	s_cbranch_vccnz .LBB0_16
; %bb.15:
	.loc	1 0 21 is_stmt 0                ; attention_bwd.py:0:21
	s_delay_alu instid0(VALU_DEP_1) | instskip(NEXT) | instid1(VALU_DEP_1)
	.loc	1 41 49 is_stmt 1               ; attention_bwd.py:41:49 @[ attention_bwd.py:200:26 ]
	v_add_co_u32 v6, vcc_lo, v2, v100
	v_add_co_ci_u32_e64 v7, null, v5, v101, vcc_lo
	.loc	1 48 21                         ; attention_bwd.py:48:21 @[ attention_bwd.py:200:26 ]
	global_load_u16 v39, v[6:7], off
.LBB0_16:
	.loc	1 41 67                         ; attention_bwd.py:41:67 @[ attention_bwd.py:200:26 ]
	v_lshl_add_u32 v6, s23, 6, v1
	v_dual_mov_b32 v41, 0 :: v_dual_mov_b32 v42, 0
	.loc	1 48 21                         ; attention_bwd.py:48:21 @[ attention_bwd.py:200:26 ]
	s_and_b32 vcc_lo, exec_lo, s2
	s_delay_alu instid0(VALU_DEP_2) | instskip(NEXT) | instid1(VALU_DEP_1)
	.loc	1 41 49                         ; attention_bwd.py:41:49 @[ attention_bwd.py:200:26 ]
	v_ashrrev_i32_e32 v7, 31, v6
	v_lshlrev_b64 v[104:105], 1, v[6:7]
	.loc	1 48 21                         ; attention_bwd.py:48:21 @[ attention_bwd.py:200:26 ]
	s_cbranch_vccnz .LBB0_18
; %bb.17:
	.loc	1 0 21 is_stmt 0                ; attention_bwd.py:0:21
	s_delay_alu instid0(VALU_DEP_1) | instskip(NEXT) | instid1(VALU_DEP_1)
	.loc	1 41 49 is_stmt 1               ; attention_bwd.py:41:49 @[ attention_bwd.py:200:26 ]
	v_add_co_u32 v6, vcc_lo, v2, v104
	v_add_co_ci_u32_e64 v7, null, v5, v105, vcc_lo
	.loc	1 48 21                         ; attention_bwd.py:48:21 @[ attention_bwd.py:200:26 ]
	global_load_u16 v42, v[6:7], off
.LBB0_18:
	.loc	1 41 67                         ; attention_bwd.py:41:67 @[ attention_bwd.py:200:26 ]
	v_mad_u64_u32 v[6:7], null, 0x48, s23, v[1:2]
	.loc	1 48 21                         ; attention_bwd.py:48:21 @[ attention_bwd.py:200:26 ]
	s_and_b32 vcc_lo, exec_lo, s2
	.loc	1 41 49                         ; attention_bwd.py:41:49 @[ attention_bwd.py:200:26 ]
	v_ashrrev_i32_e32 v7, 31, v6
	s_delay_alu instid0(VALU_DEP_1)
	v_lshlrev_b64 v[136:137], 1, v[6:7]
	.loc	1 48 21                         ; attention_bwd.py:48:21 @[ attention_bwd.py:200:26 ]
	s_cbranch_vccnz .LBB0_20
; %bb.19:
	.loc	1 0 21 is_stmt 0                ; attention_bwd.py:0:21
	s_delay_alu instid0(VALU_DEP_1) | instskip(NEXT) | instid1(VALU_DEP_1)
	.loc	1 41 49 is_stmt 1               ; attention_bwd.py:41:49 @[ attention_bwd.py:200:26 ]
	v_add_co_u32 v6, vcc_lo, v2, v136
	v_add_co_ci_u32_e64 v7, null, v5, v137, vcc_lo
	.loc	1 48 21                         ; attention_bwd.py:48:21 @[ attention_bwd.py:200:26 ]
	global_load_u16 v41, v[6:7], off
.LBB0_20:
	.loc	1 41 67                         ; attention_bwd.py:41:67 @[ attention_bwd.py:200:26 ]
	v_mad_u64_u32 v[6:7], null, 0x50, s23, v[1:2]
	v_dual_mov_b32 v43, 0 :: v_dual_mov_b32 v44, 0
	.loc	1 48 21                         ; attention_bwd.py:48:21 @[ attention_bwd.py:200:26 ]
	s_and_b32 vcc_lo, exec_lo, s2
	s_delay_alu instid0(VALU_DEP_2) | instskip(NEXT) | instid1(VALU_DEP_1)
	.loc	1 41 49                         ; attention_bwd.py:41:49 @[ attention_bwd.py:200:26 ]
	v_ashrrev_i32_e32 v7, 31, v6
	v_lshlrev_b64 v[138:139], 1, v[6:7]
	.loc	1 48 21                         ; attention_bwd.py:48:21 @[ attention_bwd.py:200:26 ]
	s_cbranch_vccnz .LBB0_22
; %bb.21:
	.loc	1 0 21 is_stmt 0                ; attention_bwd.py:0:21
	s_delay_alu instid0(VALU_DEP_1) | instskip(NEXT) | instid1(VALU_DEP_1)
	.loc	1 41 49 is_stmt 1               ; attention_bwd.py:41:49 @[ attention_bwd.py:200:26 ]
	v_add_co_u32 v6, vcc_lo, v2, v138
	v_add_co_ci_u32_e64 v7, null, v5, v139, vcc_lo
	.loc	1 48 21                         ; attention_bwd.py:48:21 @[ attention_bwd.py:200:26 ]
	global_load_u16 v44, v[6:7], off
.LBB0_22:
	.loc	1 41 56                         ; attention_bwd.py:41:56 @[ attention_bwd.py:200:26 ]
	v_or_b32_e32 v6, 0x58, v4
	.loc	1 48 21                         ; attention_bwd.py:48:21 @[ attention_bwd.py:200:26 ]
	s_and_b32 vcc_lo, exec_lo, s2
	s_delay_alu instid0(VALU_DEP_1) | instskip(NEXT) | instid1(VALU_DEP_1)
	.loc	1 41 67                         ; attention_bwd.py:41:67 @[ attention_bwd.py:200:26 ]
	v_mul_lo_u32 v6, s23, v6
	.loc	1 41 49 is_stmt 0               ; attention_bwd.py:41:49 @[ attention_bwd.py:200:26 ]
	v_ashrrev_i32_e32 v7, 31, v6
	s_delay_alu instid0(VALU_DEP_1)
	v_lshlrev_b64 v[140:141], 1, v[6:7]
	.loc	1 48 21 is_stmt 1               ; attention_bwd.py:48:21 @[ attention_bwd.py:200:26 ]
	s_cbranch_vccnz .LBB0_24
; %bb.23:
	.loc	1 0 21 is_stmt 0                ; attention_bwd.py:0:21
	s_delay_alu instid0(VALU_DEP_1) | instskip(NEXT) | instid1(VALU_DEP_1)
	.loc	1 41 49 is_stmt 1               ; attention_bwd.py:41:49 @[ attention_bwd.py:200:26 ]
	v_add_co_u32 v6, vcc_lo, v2, v140
	v_add_co_ci_u32_e64 v7, null, v5, v141, vcc_lo
	.loc	1 48 21                         ; attention_bwd.py:48:21 @[ attention_bwd.py:200:26 ]
	global_load_u16 v43, v[6:7], off
.LBB0_24:
	.loc	1 41 67                         ; attention_bwd.py:41:67 @[ attention_bwd.py:200:26 ]
	v_mad_u64_u32 v[6:7], null, 0x60, s23, v[1:2]
	v_dual_mov_b32 v45, 0 :: v_dual_mov_b32 v46, 0
	.loc	1 48 21                         ; attention_bwd.py:48:21 @[ attention_bwd.py:200:26 ]
	s_and_b32 vcc_lo, exec_lo, s2
	s_delay_alu instid0(VALU_DEP_2) | instskip(NEXT) | instid1(VALU_DEP_1)
	.loc	1 41 49                         ; attention_bwd.py:41:49 @[ attention_bwd.py:200:26 ]
	v_ashrrev_i32_e32 v7, 31, v6
	v_lshlrev_b64 v[142:143], 1, v[6:7]
	.loc	1 48 21                         ; attention_bwd.py:48:21 @[ attention_bwd.py:200:26 ]
	s_cbranch_vccnz .LBB0_26
; %bb.25:
	.loc	1 0 21 is_stmt 0                ; attention_bwd.py:0:21
	s_delay_alu instid0(VALU_DEP_1) | instskip(NEXT) | instid1(VALU_DEP_1)
	.loc	1 41 49 is_stmt 1               ; attention_bwd.py:41:49 @[ attention_bwd.py:200:26 ]
	v_add_co_u32 v6, vcc_lo, v2, v142
	v_add_co_ci_u32_e64 v7, null, v5, v143, vcc_lo
	.loc	1 48 21                         ; attention_bwd.py:48:21 @[ attention_bwd.py:200:26 ]
	global_load_u16 v46, v[6:7], off
.LBB0_26:
	.loc	1 41 67                         ; attention_bwd.py:41:67 @[ attention_bwd.py:200:26 ]
	v_mad_u64_u32 v[6:7], null, 0x68, s23, v[1:2]
	.loc	1 48 21                         ; attention_bwd.py:48:21 @[ attention_bwd.py:200:26 ]
	s_and_b32 vcc_lo, exec_lo, s2
	.loc	1 41 49                         ; attention_bwd.py:41:49 @[ attention_bwd.py:200:26 ]
	v_ashrrev_i32_e32 v7, 31, v6
	s_delay_alu instid0(VALU_DEP_1)
	v_lshlrev_b64 v[144:145], 1, v[6:7]
	.loc	1 48 21                         ; attention_bwd.py:48:21 @[ attention_bwd.py:200:26 ]
	s_cbranch_vccnz .LBB0_28
; %bb.27:
	.loc	1 0 21 is_stmt 0                ; attention_bwd.py:0:21
	s_delay_alu instid0(VALU_DEP_1) | instskip(NEXT) | instid1(VALU_DEP_1)
	.loc	1 41 49 is_stmt 1               ; attention_bwd.py:41:49 @[ attention_bwd.py:200:26 ]
	v_add_co_u32 v6, vcc_lo, v2, v144
	v_add_co_ci_u32_e64 v7, null, v5, v145, vcc_lo
	.loc	1 48 21                         ; attention_bwd.py:48:21 @[ attention_bwd.py:200:26 ]
	global_load_u16 v45, v[6:7], off
.LBB0_28:
	.loc	1 0 21 is_stmt 0                ; attention_bwd.py:0:21
	s_load_b64 s[10:11], s[0:1], 0x20
	.loc	1 41 67 is_stmt 1               ; attention_bwd.py:41:67 @[ attention_bwd.py:200:26 ]
	v_mad_u64_u32 v[6:7], null, 0x70, s23, v[1:2]
	v_dual_mov_b32 v47, 0 :: v_dual_mov_b32 v48, 0
	.loc	1 48 21                         ; attention_bwd.py:48:21 @[ attention_bwd.py:200:26 ]
	s_and_b32 vcc_lo, exec_lo, s2
	s_delay_alu instid0(VALU_DEP_2) | instskip(NEXT) | instid1(VALU_DEP_1)
	.loc	1 41 49                         ; attention_bwd.py:41:49 @[ attention_bwd.py:200:26 ]
	v_ashrrev_i32_e32 v7, 31, v6
	v_lshlrev_b64 v[146:147], 1, v[6:7]
	.loc	1 48 21                         ; attention_bwd.py:48:21 @[ attention_bwd.py:200:26 ]
	s_cbranch_vccnz .LBB0_30
; %bb.29:
	.loc	1 0 21 is_stmt 0                ; attention_bwd.py:0:21
	s_delay_alu instid0(VALU_DEP_1) | instskip(NEXT) | instid1(VALU_DEP_1)
	.loc	1 41 49 is_stmt 1               ; attention_bwd.py:41:49 @[ attention_bwd.py:200:26 ]
	v_add_co_u32 v6, vcc_lo, v2, v146
	v_add_co_ci_u32_e64 v7, null, v5, v147, vcc_lo
	.loc	1 48 21                         ; attention_bwd.py:48:21 @[ attention_bwd.py:200:26 ]
	global_load_u16 v48, v[6:7], off
.LBB0_30:
	.loc	1 41 56                         ; attention_bwd.py:41:56 @[ attention_bwd.py:200:26 ]
	v_or_b32_e32 v1, 0x78, v4
	.loc	1 48 21                         ; attention_bwd.py:48:21 @[ attention_bwd.py:200:26 ]
	s_and_b32 vcc_lo, exec_lo, s2
	s_clause 0x1                            ; 32-byte Folded Spill
	scratch_store_b128 off, v[49:52], off offset:1784
	scratch_store_b128 off, v[53:56], off offset:1800
	.loc	1 41 67                         ; attention_bwd.py:41:67 @[ attention_bwd.py:200:26 ]
	v_mul_lo_u32 v6, s23, v1
	s_delay_alu instid0(VALU_DEP_1) | instskip(NEXT) | instid1(VALU_DEP_1)
	.loc	1 41 49 is_stmt 0               ; attention_bwd.py:41:49 @[ attention_bwd.py:200:26 ]
	v_ashrrev_i32_e32 v7, 31, v6
	v_lshlrev_b64 v[148:149], 1, v[6:7]
	.loc	1 48 21 is_stmt 1               ; attention_bwd.py:48:21 @[ attention_bwd.py:200:26 ]
	s_cbranch_vccnz .LBB0_32
; %bb.31:
	.loc	1 0 21 is_stmt 0                ; attention_bwd.py:0:21
	s_delay_alu instid0(VALU_DEP_1) | instskip(NEXT) | instid1(VALU_DEP_1)
	.loc	1 41 49 is_stmt 1               ; attention_bwd.py:41:49 @[ attention_bwd.py:200:26 ]
	v_add_co_u32 v1, vcc_lo, v2, v148
	v_add_co_ci_u32_e64 v2, null, v5, v149, vcc_lo
	.loc	1 48 21                         ; attention_bwd.py:48:21 @[ attention_bwd.py:200:26 ]
	global_load_u16 v47, v[1:2], off
.LBB0_32:
	.loc	1 42 37                         ; attention_bwd.py:42:37 @[ attention_bwd.py:200:26 ]
	v_mul_lo_u32 v31, s22, v3
	v_dual_mov_b32 v49, 0 :: v_dual_mov_b32 v50, 0
.Ltmp10:
	.loc	1 151 10                        ; attention_bwd.py:151:10
	s_waitcnt lgkmcnt(0)
	s_add_u32 s43, s10, s34
	s_addc_u32 s48, s11, s35
.Ltmp11:
	.loc	1 58 21                         ; attention_bwd.py:58:21 @[ attention_bwd.py:200:26 ]
	s_and_b32 vcc_lo, exec_lo, s2
	s_delay_alu instid0(VALU_DEP_2) | instskip(NEXT) | instid1(VALU_DEP_1)
	.loc	1 42 19                         ; attention_bwd.py:42:19 @[ attention_bwd.py:200:26 ]
	v_ashrrev_i32_e32 v32, 31, v31
	v_lshlrev_b64 v[1:2], 1, v[31:32]
	.loc	1 58 21                         ; attention_bwd.py:58:21 @[ attention_bwd.py:200:26 ]
	s_cbranch_vccnz .LBB0_34
; %bb.33:
	.loc	1 0 21 is_stmt 0                ; attention_bwd.py:0:21
	s_delay_alu instid0(VALU_DEP_1) | instskip(NEXT) | instid1(VALU_DEP_1)
	.loc	1 42 19 is_stmt 1               ; attention_bwd.py:42:19 @[ attention_bwd.py:200:26 ]
	v_add_co_u32 v3, vcc_lo, s43, v1
	v_add_co_ci_u32_e64 v4, null, s48, v2, vcc_lo
	s_delay_alu instid0(VALU_DEP_2) | instskip(NEXT) | instid1(VALU_DEP_1)
	.loc	1 42 50 is_stmt 0               ; attention_bwd.py:42:50 @[ attention_bwd.py:200:26 ]
	v_add_co_u32 v3, vcc_lo, v3, v102
	v_add_co_ci_u32_e64 v4, null, v4, v103, vcc_lo
	.loc	1 58 21 is_stmt 1               ; attention_bwd.py:58:21 @[ attention_bwd.py:200:26 ]
	global_load_u16 v50, v[3:4], off
.LBB0_34:
	.loc	1 42 37                         ; attention_bwd.py:42:37 @[ attention_bwd.py:200:26 ]
	v_lshl_add_u32 v3, s22, 1, v31
	.loc	1 58 21                         ; attention_bwd.py:58:21 @[ attention_bwd.py:200:26 ]
	s_and_b32 vcc_lo, exec_lo, s2
	s_delay_alu instid0(VALU_DEP_1) | instskip(NEXT) | instid1(VALU_DEP_1)
	.loc	1 42 19                         ; attention_bwd.py:42:19 @[ attention_bwd.py:200:26 ]
	v_ashrrev_i32_e32 v4, 31, v3
	v_lshlrev_b64 v[3:4], 1, v[3:4]
	.loc	1 58 21                         ; attention_bwd.py:58:21 @[ attention_bwd.py:200:26 ]
	s_cbranch_vccnz .LBB0_36
; %bb.35:
	.loc	1 0 21 is_stmt 0                ; attention_bwd.py:0:21
	s_delay_alu instid0(VALU_DEP_1) | instskip(NEXT) | instid1(VALU_DEP_1)
	.loc	1 42 19 is_stmt 1               ; attention_bwd.py:42:19 @[ attention_bwd.py:200:26 ]
	v_add_co_u32 v5, vcc_lo, s43, v3
	v_add_co_ci_u32_e64 v6, null, s48, v4, vcc_lo
	s_delay_alu instid0(VALU_DEP_2) | instskip(NEXT) | instid1(VALU_DEP_1)
	.loc	1 42 50 is_stmt 0               ; attention_bwd.py:42:50 @[ attention_bwd.py:200:26 ]
	v_add_co_u32 v5, vcc_lo, v5, v102
	v_add_co_ci_u32_e64 v6, null, v6, v103, vcc_lo
	.loc	1 58 21 is_stmt 1               ; attention_bwd.py:58:21 @[ attention_bwd.py:200:26 ]
	global_load_u16 v49, v[5:6], off
.LBB0_36:
	.loc	1 42 37                         ; attention_bwd.py:42:37 @[ attention_bwd.py:200:26 ]
	v_lshl_add_u32 v5, s22, 2, v31
	v_dual_mov_b32 v51, 0 :: v_dual_mov_b32 v52, 0
	.loc	1 58 21                         ; attention_bwd.py:58:21 @[ attention_bwd.py:200:26 ]
	s_and_b32 vcc_lo, exec_lo, s2
	s_delay_alu instid0(VALU_DEP_2) | instskip(NEXT) | instid1(VALU_DEP_1)
	.loc	1 42 19                         ; attention_bwd.py:42:19 @[ attention_bwd.py:200:26 ]
	v_ashrrev_i32_e32 v6, 31, v5
	v_lshlrev_b64 v[5:6], 1, v[5:6]
	.loc	1 58 21                         ; attention_bwd.py:58:21 @[ attention_bwd.py:200:26 ]
	s_cbranch_vccnz .LBB0_38
; %bb.37:
	.loc	1 0 21 is_stmt 0                ; attention_bwd.py:0:21
	s_delay_alu instid0(VALU_DEP_1) | instskip(NEXT) | instid1(VALU_DEP_1)
	.loc	1 42 19 is_stmt 1               ; attention_bwd.py:42:19 @[ attention_bwd.py:200:26 ]
	v_add_co_u32 v7, vcc_lo, s43, v5
	v_add_co_ci_u32_e64 v8, null, s48, v6, vcc_lo
	s_delay_alu instid0(VALU_DEP_2) | instskip(NEXT) | instid1(VALU_DEP_1)
	.loc	1 42 50 is_stmt 0               ; attention_bwd.py:42:50 @[ attention_bwd.py:200:26 ]
	v_add_co_u32 v7, vcc_lo, v7, v102
	v_add_co_ci_u32_e64 v8, null, v8, v103, vcc_lo
	.loc	1 58 21 is_stmt 1               ; attention_bwd.py:58:21 @[ attention_bwd.py:200:26 ]
	global_load_u16 v52, v[7:8], off
.LBB0_38:
	.loc	1 42 37                         ; attention_bwd.py:42:37 @[ attention_bwd.py:200:26 ]
	v_mad_u64_u32 v[7:8], null, s22, 6, v[31:32]
	.loc	1 58 21                         ; attention_bwd.py:58:21 @[ attention_bwd.py:200:26 ]
	s_and_b32 vcc_lo, exec_lo, s2
	.loc	1 42 19                         ; attention_bwd.py:42:19 @[ attention_bwd.py:200:26 ]
	v_ashrrev_i32_e32 v8, 31, v7
	s_delay_alu instid0(VALU_DEP_1)
	v_lshlrev_b64 v[7:8], 1, v[7:8]
	.loc	1 58 21                         ; attention_bwd.py:58:21 @[ attention_bwd.py:200:26 ]
	s_cbranch_vccnz .LBB0_40
; %bb.39:
	.loc	1 0 21 is_stmt 0                ; attention_bwd.py:0:21
	s_delay_alu instid0(VALU_DEP_1) | instskip(NEXT) | instid1(VALU_DEP_1)
	.loc	1 42 19 is_stmt 1               ; attention_bwd.py:42:19 @[ attention_bwd.py:200:26 ]
	v_add_co_u32 v9, vcc_lo, s43, v7
	v_add_co_ci_u32_e64 v10, null, s48, v8, vcc_lo
	s_delay_alu instid0(VALU_DEP_2) | instskip(NEXT) | instid1(VALU_DEP_1)
	.loc	1 42 50 is_stmt 0               ; attention_bwd.py:42:50 @[ attention_bwd.py:200:26 ]
	v_add_co_u32 v9, vcc_lo, v9, v102
	v_add_co_ci_u32_e64 v10, null, v10, v103, vcc_lo
	.loc	1 58 21 is_stmt 1               ; attention_bwd.py:58:21 @[ attention_bwd.py:200:26 ]
	global_load_u16 v51, v[9:10], off
.LBB0_40:
	.loc	1 42 37                         ; attention_bwd.py:42:37 @[ attention_bwd.py:200:26 ]
	v_lshl_add_u32 v9, s22, 3, v31
	v_dual_mov_b32 v53, 0 :: v_dual_mov_b32 v54, 0
	.loc	1 58 21                         ; attention_bwd.py:58:21 @[ attention_bwd.py:200:26 ]
	s_and_b32 vcc_lo, exec_lo, s2
	s_delay_alu instid0(VALU_DEP_2) | instskip(NEXT) | instid1(VALU_DEP_1)
	.loc	1 42 19                         ; attention_bwd.py:42:19 @[ attention_bwd.py:200:26 ]
	v_ashrrev_i32_e32 v10, 31, v9
	v_lshlrev_b64 v[9:10], 1, v[9:10]
	.loc	1 58 21                         ; attention_bwd.py:58:21 @[ attention_bwd.py:200:26 ]
	s_cbranch_vccnz .LBB0_42
; %bb.41:
	.loc	1 0 21 is_stmt 0                ; attention_bwd.py:0:21
	s_delay_alu instid0(VALU_DEP_1) | instskip(NEXT) | instid1(VALU_DEP_1)
	.loc	1 42 19 is_stmt 1               ; attention_bwd.py:42:19 @[ attention_bwd.py:200:26 ]
	v_add_co_u32 v11, vcc_lo, s43, v9
	v_add_co_ci_u32_e64 v12, null, s48, v10, vcc_lo
	s_delay_alu instid0(VALU_DEP_2) | instskip(NEXT) | instid1(VALU_DEP_1)
	.loc	1 42 50 is_stmt 0               ; attention_bwd.py:42:50 @[ attention_bwd.py:200:26 ]
	v_add_co_u32 v11, vcc_lo, v11, v102
	v_add_co_ci_u32_e64 v12, null, v12, v103, vcc_lo
	.loc	1 58 21 is_stmt 1               ; attention_bwd.py:58:21 @[ attention_bwd.py:200:26 ]
	global_load_u16 v54, v[11:12], off
.LBB0_42:
	.loc	1 42 37                         ; attention_bwd.py:42:37 @[ attention_bwd.py:200:26 ]
	v_mad_u64_u32 v[11:12], null, s22, 10, v[31:32]
	.loc	1 58 21                         ; attention_bwd.py:58:21 @[ attention_bwd.py:200:26 ]
	s_and_b32 vcc_lo, exec_lo, s2
	.loc	1 42 19                         ; attention_bwd.py:42:19 @[ attention_bwd.py:200:26 ]
	v_ashrrev_i32_e32 v12, 31, v11
	s_delay_alu instid0(VALU_DEP_1)
	v_lshlrev_b64 v[11:12], 1, v[11:12]
	.loc	1 58 21                         ; attention_bwd.py:58:21 @[ attention_bwd.py:200:26 ]
	s_cbranch_vccnz .LBB0_44
; %bb.43:
	.loc	1 0 21 is_stmt 0                ; attention_bwd.py:0:21
	s_delay_alu instid0(VALU_DEP_1) | instskip(NEXT) | instid1(VALU_DEP_1)
	.loc	1 42 19 is_stmt 1               ; attention_bwd.py:42:19 @[ attention_bwd.py:200:26 ]
	v_add_co_u32 v13, vcc_lo, s43, v11
	v_add_co_ci_u32_e64 v14, null, s48, v12, vcc_lo
	s_delay_alu instid0(VALU_DEP_2) | instskip(NEXT) | instid1(VALU_DEP_1)
	.loc	1 42 50 is_stmt 0               ; attention_bwd.py:42:50 @[ attention_bwd.py:200:26 ]
	v_add_co_u32 v13, vcc_lo, v13, v102
	v_add_co_ci_u32_e64 v14, null, v14, v103, vcc_lo
	.loc	1 58 21 is_stmt 1               ; attention_bwd.py:58:21 @[ attention_bwd.py:200:26 ]
	global_load_u16 v53, v[13:14], off
.LBB0_44:
	.loc	1 42 37                         ; attention_bwd.py:42:37 @[ attention_bwd.py:200:26 ]
	v_mad_u64_u32 v[13:14], null, s22, 12, v[31:32]
	v_dual_mov_b32 v55, 0 :: v_dual_mov_b32 v56, 0
	.loc	1 58 21                         ; attention_bwd.py:58:21 @[ attention_bwd.py:200:26 ]
	s_and_b32 vcc_lo, exec_lo, s2
	s_delay_alu instid0(VALU_DEP_2) | instskip(NEXT) | instid1(VALU_DEP_1)
	.loc	1 42 19                         ; attention_bwd.py:42:19 @[ attention_bwd.py:200:26 ]
	v_ashrrev_i32_e32 v14, 31, v13
	v_lshlrev_b64 v[13:14], 1, v[13:14]
	.loc	1 58 21                         ; attention_bwd.py:58:21 @[ attention_bwd.py:200:26 ]
	s_cbranch_vccnz .LBB0_46
; %bb.45:
	.loc	1 0 21 is_stmt 0                ; attention_bwd.py:0:21
	s_delay_alu instid0(VALU_DEP_1) | instskip(NEXT) | instid1(VALU_DEP_1)
	.loc	1 42 19 is_stmt 1               ; attention_bwd.py:42:19 @[ attention_bwd.py:200:26 ]
	v_add_co_u32 v15, vcc_lo, s43, v13
	v_add_co_ci_u32_e64 v16, null, s48, v14, vcc_lo
	s_delay_alu instid0(VALU_DEP_2) | instskip(NEXT) | instid1(VALU_DEP_1)
	.loc	1 42 50 is_stmt 0               ; attention_bwd.py:42:50 @[ attention_bwd.py:200:26 ]
	v_add_co_u32 v15, vcc_lo, v15, v102
	v_add_co_ci_u32_e64 v16, null, v16, v103, vcc_lo
	.loc	1 58 21 is_stmt 1               ; attention_bwd.py:58:21 @[ attention_bwd.py:200:26 ]
	global_load_u16 v56, v[15:16], off
.LBB0_46:
	.loc	1 42 37                         ; attention_bwd.py:42:37 @[ attention_bwd.py:200:26 ]
	v_mad_u64_u32 v[15:16], null, s22, 14, v[31:32]
	.loc	1 58 21                         ; attention_bwd.py:58:21 @[ attention_bwd.py:200:26 ]
	s_and_b32 vcc_lo, exec_lo, s2
	s_clause 0x1                            ; 32-byte Folded Spill
	scratch_store_b128 off, v[57:60], off offset:1816
	scratch_store_b128 off, v[61:64], off offset:1832
	.loc	1 42 19                         ; attention_bwd.py:42:19 @[ attention_bwd.py:200:26 ]
	v_ashrrev_i32_e32 v16, 31, v15
	s_delay_alu instid0(VALU_DEP_1)
	v_lshlrev_b64 v[15:16], 1, v[15:16]
	.loc	1 58 21                         ; attention_bwd.py:58:21 @[ attention_bwd.py:200:26 ]
	s_cbranch_vccnz .LBB0_48
; %bb.47:
	.loc	1 0 21 is_stmt 0                ; attention_bwd.py:0:21
	s_delay_alu instid0(VALU_DEP_1) | instskip(NEXT) | instid1(VALU_DEP_1)
	.loc	1 42 19 is_stmt 1               ; attention_bwd.py:42:19 @[ attention_bwd.py:200:26 ]
	v_add_co_u32 v17, vcc_lo, s43, v15
	v_add_co_ci_u32_e64 v18, null, s48, v16, vcc_lo
	s_delay_alu instid0(VALU_DEP_2) | instskip(NEXT) | instid1(VALU_DEP_1)
	.loc	1 42 50 is_stmt 0               ; attention_bwd.py:42:50 @[ attention_bwd.py:200:26 ]
	v_add_co_u32 v17, vcc_lo, v17, v102
	v_add_co_ci_u32_e64 v18, null, v18, v103, vcc_lo
	.loc	1 58 21 is_stmt 1               ; attention_bwd.py:58:21 @[ attention_bwd.py:200:26 ]
	global_load_u16 v55, v[17:18], off
.LBB0_48:
	.loc	1 42 37                         ; attention_bwd.py:42:37 @[ attention_bwd.py:200:26 ]
	v_lshl_add_u32 v17, s22, 4, v31
	v_dual_mov_b32 v57, 0 :: v_dual_mov_b32 v58, 0
	.loc	1 58 21                         ; attention_bwd.py:58:21 @[ attention_bwd.py:200:26 ]
	s_and_b32 vcc_lo, exec_lo, s2
	s_delay_alu instid0(VALU_DEP_2) | instskip(NEXT) | instid1(VALU_DEP_1)
	.loc	1 42 19                         ; attention_bwd.py:42:19 @[ attention_bwd.py:200:26 ]
	v_ashrrev_i32_e32 v18, 31, v17
	v_lshlrev_b64 v[17:18], 1, v[17:18]
	.loc	1 58 21                         ; attention_bwd.py:58:21 @[ attention_bwd.py:200:26 ]
	s_cbranch_vccnz .LBB0_50
; %bb.49:
	.loc	1 0 21 is_stmt 0                ; attention_bwd.py:0:21
	s_delay_alu instid0(VALU_DEP_1) | instskip(NEXT) | instid1(VALU_DEP_1)
	.loc	1 42 19 is_stmt 1               ; attention_bwd.py:42:19 @[ attention_bwd.py:200:26 ]
	v_add_co_u32 v19, vcc_lo, s43, v17
	v_add_co_ci_u32_e64 v20, null, s48, v18, vcc_lo
	s_delay_alu instid0(VALU_DEP_2) | instskip(NEXT) | instid1(VALU_DEP_1)
	.loc	1 42 50 is_stmt 0               ; attention_bwd.py:42:50 @[ attention_bwd.py:200:26 ]
	v_add_co_u32 v19, vcc_lo, v19, v102
	v_add_co_ci_u32_e64 v20, null, v20, v103, vcc_lo
	.loc	1 58 21 is_stmt 1               ; attention_bwd.py:58:21 @[ attention_bwd.py:200:26 ]
	global_load_u16 v58, v[19:20], off
.LBB0_50:
	.loc	1 42 37                         ; attention_bwd.py:42:37 @[ attention_bwd.py:200:26 ]
	v_mad_u64_u32 v[19:20], null, s22, 18, v[31:32]
	.loc	1 58 21                         ; attention_bwd.py:58:21 @[ attention_bwd.py:200:26 ]
	s_and_b32 vcc_lo, exec_lo, s2
	.loc	1 42 19                         ; attention_bwd.py:42:19 @[ attention_bwd.py:200:26 ]
	v_ashrrev_i32_e32 v20, 31, v19
	s_delay_alu instid0(VALU_DEP_1)
	v_lshlrev_b64 v[19:20], 1, v[19:20]
	.loc	1 58 21                         ; attention_bwd.py:58:21 @[ attention_bwd.py:200:26 ]
	s_cbranch_vccnz .LBB0_52
; %bb.51:
	.loc	1 0 21 is_stmt 0                ; attention_bwd.py:0:21
	s_delay_alu instid0(VALU_DEP_1) | instskip(NEXT) | instid1(VALU_DEP_1)
	.loc	1 42 19 is_stmt 1               ; attention_bwd.py:42:19 @[ attention_bwd.py:200:26 ]
	v_add_co_u32 v21, vcc_lo, s43, v19
	v_add_co_ci_u32_e64 v22, null, s48, v20, vcc_lo
	s_delay_alu instid0(VALU_DEP_2) | instskip(NEXT) | instid1(VALU_DEP_1)
	.loc	1 42 50 is_stmt 0               ; attention_bwd.py:42:50 @[ attention_bwd.py:200:26 ]
	v_add_co_u32 v21, vcc_lo, v21, v102
	v_add_co_ci_u32_e64 v22, null, v22, v103, vcc_lo
	.loc	1 58 21 is_stmt 1               ; attention_bwd.py:58:21 @[ attention_bwd.py:200:26 ]
	global_load_u16 v57, v[21:22], off
.LBB0_52:
	.loc	1 42 37                         ; attention_bwd.py:42:37 @[ attention_bwd.py:200:26 ]
	v_mad_u64_u32 v[21:22], null, s22, 20, v[31:32]
	v_dual_mov_b32 v59, 0 :: v_dual_mov_b32 v60, 0
	.loc	1 58 21                         ; attention_bwd.py:58:21 @[ attention_bwd.py:200:26 ]
	s_and_b32 vcc_lo, exec_lo, s2
	s_delay_alu instid0(VALU_DEP_2) | instskip(NEXT) | instid1(VALU_DEP_1)
	.loc	1 42 19                         ; attention_bwd.py:42:19 @[ attention_bwd.py:200:26 ]
	v_ashrrev_i32_e32 v22, 31, v21
	v_lshlrev_b64 v[21:22], 1, v[21:22]
	.loc	1 58 21                         ; attention_bwd.py:58:21 @[ attention_bwd.py:200:26 ]
	s_cbranch_vccnz .LBB0_54
; %bb.53:
	.loc	1 0 21 is_stmt 0                ; attention_bwd.py:0:21
	s_delay_alu instid0(VALU_DEP_1) | instskip(NEXT) | instid1(VALU_DEP_1)
	.loc	1 42 19 is_stmt 1               ; attention_bwd.py:42:19 @[ attention_bwd.py:200:26 ]
	v_add_co_u32 v23, vcc_lo, s43, v21
	v_add_co_ci_u32_e64 v24, null, s48, v22, vcc_lo
	s_delay_alu instid0(VALU_DEP_2) | instskip(NEXT) | instid1(VALU_DEP_1)
	.loc	1 42 50 is_stmt 0               ; attention_bwd.py:42:50 @[ attention_bwd.py:200:26 ]
	v_add_co_u32 v23, vcc_lo, v23, v102
	v_add_co_ci_u32_e64 v24, null, v24, v103, vcc_lo
	.loc	1 58 21 is_stmt 1               ; attention_bwd.py:58:21 @[ attention_bwd.py:200:26 ]
	global_load_u16 v60, v[23:24], off
.LBB0_54:
	.loc	1 42 37                         ; attention_bwd.py:42:37 @[ attention_bwd.py:200:26 ]
	v_mad_u64_u32 v[23:24], null, s22, 22, v[31:32]
	.loc	1 58 21                         ; attention_bwd.py:58:21 @[ attention_bwd.py:200:26 ]
	s_and_b32 vcc_lo, exec_lo, s2
	.loc	1 42 19                         ; attention_bwd.py:42:19 @[ attention_bwd.py:200:26 ]
	v_ashrrev_i32_e32 v24, 31, v23
	s_delay_alu instid0(VALU_DEP_1)
	v_lshlrev_b64 v[23:24], 1, v[23:24]
	.loc	1 58 21                         ; attention_bwd.py:58:21 @[ attention_bwd.py:200:26 ]
	s_cbranch_vccnz .LBB0_56
; %bb.55:
	.loc	1 0 21 is_stmt 0                ; attention_bwd.py:0:21
	s_delay_alu instid0(VALU_DEP_1) | instskip(NEXT) | instid1(VALU_DEP_1)
	.loc	1 42 19 is_stmt 1               ; attention_bwd.py:42:19 @[ attention_bwd.py:200:26 ]
	v_add_co_u32 v25, vcc_lo, s43, v23
	v_add_co_ci_u32_e64 v26, null, s48, v24, vcc_lo
	s_delay_alu instid0(VALU_DEP_2) | instskip(NEXT) | instid1(VALU_DEP_1)
	.loc	1 42 50 is_stmt 0               ; attention_bwd.py:42:50 @[ attention_bwd.py:200:26 ]
	v_add_co_u32 v25, vcc_lo, v25, v102
	v_add_co_ci_u32_e64 v26, null, v26, v103, vcc_lo
	.loc	1 58 21 is_stmt 1               ; attention_bwd.py:58:21 @[ attention_bwd.py:200:26 ]
	global_load_u16 v59, v[25:26], off
.LBB0_56:
	.loc	1 42 37                         ; attention_bwd.py:42:37 @[ attention_bwd.py:200:26 ]
	v_mad_u64_u32 v[25:26], null, s22, 24, v[31:32]
	v_dual_mov_b32 v61, 0 :: v_dual_mov_b32 v62, 0
	.loc	1 58 21                         ; attention_bwd.py:58:21 @[ attention_bwd.py:200:26 ]
	s_and_b32 vcc_lo, exec_lo, s2
	s_delay_alu instid0(VALU_DEP_2) | instskip(NEXT) | instid1(VALU_DEP_1)
	.loc	1 42 19                         ; attention_bwd.py:42:19 @[ attention_bwd.py:200:26 ]
	v_ashrrev_i32_e32 v26, 31, v25
	v_lshlrev_b64 v[25:26], 1, v[25:26]
	.loc	1 58 21                         ; attention_bwd.py:58:21 @[ attention_bwd.py:200:26 ]
	s_cbranch_vccnz .LBB0_58
; %bb.57:
	.loc	1 0 21 is_stmt 0                ; attention_bwd.py:0:21
	s_delay_alu instid0(VALU_DEP_1) | instskip(NEXT) | instid1(VALU_DEP_1)
	.loc	1 42 19 is_stmt 1               ; attention_bwd.py:42:19 @[ attention_bwd.py:200:26 ]
	v_add_co_u32 v27, vcc_lo, s43, v25
	v_add_co_ci_u32_e64 v28, null, s48, v26, vcc_lo
	s_delay_alu instid0(VALU_DEP_2) | instskip(NEXT) | instid1(VALU_DEP_1)
	.loc	1 42 50 is_stmt 0               ; attention_bwd.py:42:50 @[ attention_bwd.py:200:26 ]
	v_add_co_u32 v27, vcc_lo, v27, v102
	v_add_co_ci_u32_e64 v28, null, v28, v103, vcc_lo
	.loc	1 58 21 is_stmt 1               ; attention_bwd.py:58:21 @[ attention_bwd.py:200:26 ]
	global_load_u16 v62, v[27:28], off
.LBB0_58:
	.loc	1 42 37                         ; attention_bwd.py:42:37 @[ attention_bwd.py:200:26 ]
	v_mad_u64_u32 v[27:28], null, s22, 26, v[31:32]
	.loc	1 58 21                         ; attention_bwd.py:58:21 @[ attention_bwd.py:200:26 ]
	s_and_b32 vcc_lo, exec_lo, s2
	s_clause 0x1                            ; 32-byte Folded Spill
	scratch_store_b128 off, v[65:68], off offset:1848
	scratch_store_b128 off, v[69:72], off offset:1864
	.loc	1 42 19                         ; attention_bwd.py:42:19 @[ attention_bwd.py:200:26 ]
	v_ashrrev_i32_e32 v28, 31, v27
	s_delay_alu instid0(VALU_DEP_1)
	v_lshlrev_b64 v[27:28], 1, v[27:28]
	.loc	1 58 21                         ; attention_bwd.py:58:21 @[ attention_bwd.py:200:26 ]
	s_cbranch_vccnz .LBB0_60
; %bb.59:
	.loc	1 0 21 is_stmt 0                ; attention_bwd.py:0:21
	s_delay_alu instid0(VALU_DEP_1) | instskip(NEXT) | instid1(VALU_DEP_1)
	.loc	1 42 19 is_stmt 1               ; attention_bwd.py:42:19 @[ attention_bwd.py:200:26 ]
	v_add_co_u32 v29, vcc_lo, s43, v27
	v_add_co_ci_u32_e64 v30, null, s48, v28, vcc_lo
	s_delay_alu instid0(VALU_DEP_2) | instskip(NEXT) | instid1(VALU_DEP_1)
	.loc	1 42 50 is_stmt 0               ; attention_bwd.py:42:50 @[ attention_bwd.py:200:26 ]
	v_add_co_u32 v29, vcc_lo, v29, v102
	v_add_co_ci_u32_e64 v30, null, v30, v103, vcc_lo
	.loc	1 58 21 is_stmt 1               ; attention_bwd.py:58:21 @[ attention_bwd.py:200:26 ]
	global_load_u16 v61, v[29:30], off
.LBB0_60:
	.loc	1 0 21 is_stmt 0                ; attention_bwd.py:0:21
	s_load_b128 s[4:7], s[0:1], 0x40
	.loc	1 42 37 is_stmt 1               ; attention_bwd.py:42:37 @[ attention_bwd.py:200:26 ]
	v_mad_u64_u32 v[29:30], null, s22, 28, v[31:32]
	v_dual_mov_b32 v63, 0 :: v_dual_mov_b32 v64, 0
	.loc	1 58 21                         ; attention_bwd.py:58:21 @[ attention_bwd.py:200:26 ]
	s_and_b32 vcc_lo, exec_lo, s2
	s_delay_alu instid0(VALU_DEP_2) | instskip(NEXT) | instid1(VALU_DEP_1)
	.loc	1 42 19                         ; attention_bwd.py:42:19 @[ attention_bwd.py:200:26 ]
	v_ashrrev_i32_e32 v30, 31, v29
	v_lshlrev_b64 v[29:30], 1, v[29:30]
	.loc	1 58 21                         ; attention_bwd.py:58:21 @[ attention_bwd.py:200:26 ]
	s_cbranch_vccnz .LBB0_62
; %bb.61:
	.loc	1 0 21 is_stmt 0                ; attention_bwd.py:0:21
	s_delay_alu instid0(VALU_DEP_1) | instskip(NEXT) | instid1(VALU_DEP_1)
	.loc	1 42 19 is_stmt 1               ; attention_bwd.py:42:19 @[ attention_bwd.py:200:26 ]
	v_add_co_u32 v32, vcc_lo, s43, v29
	v_add_co_ci_u32_e64 v65, null, s48, v30, vcc_lo
	s_delay_alu instid0(VALU_DEP_2) | instskip(NEXT) | instid1(VALU_DEP_1)
	.loc	1 42 50 is_stmt 0               ; attention_bwd.py:42:50 @[ attention_bwd.py:200:26 ]
	v_add_co_u32 v64, vcc_lo, v32, v102
	v_add_co_ci_u32_e64 v65, null, v65, v103, vcc_lo
	.loc	1 58 21 is_stmt 1               ; attention_bwd.py:58:21 @[ attention_bwd.py:200:26 ]
	global_load_u16 v64, v[64:65], off
.LBB0_62:
	.loc	1 42 37                         ; attention_bwd.py:42:37 @[ attention_bwd.py:200:26 ]
	v_mad_u64_u32 v[65:66], null, s22, 30, v[31:32]
	.loc	1 58 21                         ; attention_bwd.py:58:21 @[ attention_bwd.py:200:26 ]
	s_and_b32 vcc_lo, exec_lo, s2
	s_clause 0x3                            ; 64-byte Folded Spill
	scratch_store_b128 off, v[150:153], off offset:1592
	scratch_store_b128 off, v[154:157], off offset:1608
	scratch_store_b128 off, v[73:76], off offset:1880
	scratch_store_b128 off, v[77:80], off offset:1896
	.loc	1 42 19                         ; attention_bwd.py:42:19 @[ attention_bwd.py:200:26 ]
	v_ashrrev_i32_e32 v66, 31, v65
	s_delay_alu instid0(VALU_DEP_1)
	v_lshlrev_b64 v[31:32], 1, v[65:66]
	.loc	1 58 21                         ; attention_bwd.py:58:21 @[ attention_bwd.py:200:26 ]
	s_cbranch_vccnz .LBB0_64
; %bb.63:
	.loc	1 0 21 is_stmt 0                ; attention_bwd.py:0:21
	s_delay_alu instid0(VALU_DEP_1) | instskip(NEXT) | instid1(VALU_DEP_1)
	.loc	1 42 19 is_stmt 1               ; attention_bwd.py:42:19 @[ attention_bwd.py:200:26 ]
	v_add_co_u32 v63, vcc_lo, s43, v31
	v_add_co_ci_u32_e64 v66, null, s48, v32, vcc_lo
	s_delay_alu instid0(VALU_DEP_2) | instskip(NEXT) | instid1(VALU_DEP_1)
	.loc	1 42 50 is_stmt 0               ; attention_bwd.py:42:50 @[ attention_bwd.py:200:26 ]
	v_add_co_u32 v65, vcc_lo, v63, v102
	v_add_co_ci_u32_e64 v66, null, v66, v103, vcc_lo
	.loc	1 58 21 is_stmt 1               ; attention_bwd.py:58:21 @[ attention_bwd.py:200:26 ]
	global_load_u16 v63, v[65:66], off
.Ltmp12:
.LBB0_64:
	.loc	1 171 58                        ; attention_bwd.py:171:58
	v_bfe_u32 v65, v0, 4, 1
	v_and_b32_e32 v165, 16, v0
	.loc	1 143 22                        ; attention_bwd.py:143:22
	s_mul_i32 s14, s9, s15
	ds_load_b128 v[221:224], v112
	ds_load_b128 v[225:228], v113
	;; [unrolled: 1-line block ×16, first 2 shown]
	.loc	1 143 32 is_stmt 0              ; attention_bwd.py:143:32
	s_ashr_i32 s15, s14, 31
.Ltmp13:
	.loc	1 38 36 is_stmt 1               ; attention_bwd.py:38:36 @[ attention_bwd.py:200:26 ]
	v_lshlrev_b32_e32 v233, 2, v65
	scratch_store_b32 off, v65, off offset:2464 ; 4-byte Folded Spill
	.loc	1 51 20                         ; attention_bwd.py:51:20 @[ attention_bwd.py:200:26 ]
	v_lshrrev_b32_e32 v65, 2, v165
.Ltmp14:
	.loc	1 155 9                         ; attention_bwd.py:155:9
	s_lshl_b64 s[14:15], s[14:15], 2
	s_waitcnt lgkmcnt(0)
	s_add_u32 s24, s4, s14
.Ltmp15:
	.loc	1 51 20                         ; attention_bwd.py:51:20 @[ attention_bwd.py:200:26 ]
	v_or_b32_e32 v66, 8, v233
	v_or_b32_e32 v67, 16, v233
	;; [unrolled: 1-line block ×7, first 2 shown]
	v_cndmask_b32_e64 v65, 0x80000000, v65, s3
	v_or_b32_e32 v70, 40, v233
	v_or_b32_e32 v71, 48, v233
	;; [unrolled: 1-line block ×8, first 2 shown]
.Ltmp16:
	.loc	1 155 9                         ; attention_bwd.py:155:9
	s_addc_u32 s25, s5, s15
.Ltmp17:
	.loc	1 51 20                         ; attention_bwd.py:51:20 @[ attention_bwd.py:200:26 ]
	v_cndmask_b32_e64 v66, 0x80000000, v66, s3
.Ltmp18:
	.loc	1 156 9                         ; attention_bwd.py:156:9
	s_add_u32 s20, s6, s14
.Ltmp19:
	.loc	1 51 20                         ; attention_bwd.py:51:20 @[ attention_bwd.py:200:26 ]
	v_cndmask_b32_e64 v67, 0x80000000, v67, s3
	v_cndmask_b32_e64 v73, 0x80000000, v73, s3
.Ltmp20:
	.loc	1 156 9                         ; attention_bwd.py:156:9
	s_addc_u32 s21, s7, s15
.Ltmp21:
	.loc	1 51 20                         ; attention_bwd.py:51:20 @[ attention_bwd.py:200:26 ]
	s_and_b32 s5, s25, 0xffff
	s_mov_b32 s7, 0x31027000
	s_mov_b32 s6, 0x7ffffffe
	s_mov_b32 s4, s24
	v_cndmask_b32_e64 v68, 0x80000000, v68, s3
	v_cndmask_b32_e64 v74, 0x80000000, v74, s3
	;; [unrolled: 1-line block ×12, first 2 shown]
	s_clause 0xf
	buffer_load_b32 v237, v65, s[4:7], 0 offen
	buffer_load_b32 v234, v66, s[4:7], 0 offen
	;; [unrolled: 1-line block ×16, first 2 shown]
	.loc	1 64 21                         ; attention_bwd.py:64:21 @[ attention_bwd.py:200:26 ]
	s_and_b32 s5, s21, 0xffff
	s_mov_b32 s4, s20
	s_clause 0xf
	buffer_load_b32 v153, v65, s[4:7], 0 offen
	buffer_load_b32 v152, v66, s[4:7], 0 offen
	;; [unrolled: 1-line block ×16, first 2 shown]
	.loc	1 48 21                         ; attention_bwd.py:48:21 @[ attention_bwd.py:200:26 ]
	v_lshlrev_b32_e32 v65, 1, v0
.Ltmp22:
	.loc	1 191 37                        ; attention_bwd.py:191:37
	s_ashr_i32 s3, s9, 31
	.loc	1 171 58                        ; attention_bwd.py:171:58
	v_and_b32_e32 v69, 32, v0
	.loc	1 191 37                        ; attention_bwd.py:191:37
	s_lshr_b32 s3, s3, 27
	s_mov_b32 s4, -1
.Ltmp23:
	.loc	1 48 21                         ; attention_bwd.py:48:21 @[ attention_bwd.py:200:26 ]
	v_add_nc_u32_e32 v66, 0, v65
.Ltmp24:
	.loc	1 191 37                        ; attention_bwd.py:191:37
	s_add_i32 s3, s9, s3
	s_delay_alu instid0(SALU_CYCLE_1) | instskip(SKIP_2) | instid1(SALU_CYCLE_1)
	s_ashr_i32 s3, s3, 5
.Ltmp25:
	.loc	1 47 25                         ; attention_bwd.py:47:25 @[ attention_bwd.py:200:26 ]
	s_cmp_gt_i32 s9, 63
	s_cselect_b32 s42, -1, 0
	s_and_b32 vcc_lo, exec_lo, s42
	.loc	1 48 21                         ; attention_bwd.py:48:21 @[ attention_bwd.py:200:26 ]
	s_waitcnt vmcnt(0)
	s_waitcnt_vscnt null, 0x0
	s_barrier
	buffer_gl0_inv
	ds_store_b16 v66, v34
	ds_store_b16 v66, v33 offset:512
	ds_store_b16 v66, v36 offset:1024
	;; [unrolled: 1-line block ×11, first 2 shown]
	.loc	1 58 21                         ; attention_bwd.py:58:21 @[ attention_bwd.py:200:26 ]
	ds_store_b16 v66, v50 offset:8192
	ds_store_b16 v66, v49 offset:8704
	;; [unrolled: 1-line block ×12, first 2 shown]
	.loc	1 48 21                         ; attention_bwd.py:48:21 @[ attention_bwd.py:200:26 ]
	v_or_b32_e32 v33, 0x600, v65
	v_lshlrev_b32_e32 v40, 6, v98
	v_lshlrev_b32_e32 v44, 1, v98
	;; [unrolled: 1-line block ×3, first 2 shown]
                                        ; implicit-def: $vgpr34
	s_delay_alu instid0(VALU_DEP_4) | instskip(SKIP_1) | instid1(VALU_DEP_1)
	v_add_nc_u32_e32 v36, 0, v33
	v_or_b32_e32 v33, 0xe00, v65
	v_add_nc_u32_e32 v37, 0, v33
	v_or_b32_e32 v33, 0x1600, v65
	ds_store_b16 v36, v35
                                        ; implicit-def: $vgpr35
	v_add_nc_u32_e32 v38, 0, v33
	v_or_b32_e32 v33, 0x1e00, v65
	ds_store_b16 v37, v39
	ds_store_b16 v38, v43
	v_add_nc_u32_e32 v39, 0, v33
	ds_store_b16 v39, v47
	.loc	1 58 21                         ; attention_bwd.py:58:21 @[ attention_bwd.py:200:26 ]
	ds_store_b16 v36, v51 offset:8192
	ds_store_b16 v37, v55 offset:8192
	;; [unrolled: 1-line block ×4, first 2 shown]
                                        ; implicit-def: $vgpr33
	.loc	1 47 25                         ; attention_bwd.py:47:25 @[ attention_bwd.py:200:26 ]
	s_cbranch_vccnz .LBB0_66
; %bb.65:                               ; %.._crit_edge_crit_edge
	.loc	1 69 26                         ; attention_bwd.py:69:26 @[ attention_bwd.py:200:26 ]
	v_lshlrev_b32_e32 v33, 6, v98
	v_lshlrev_b32_e32 v34, 5, v69
	.loc	1 48 21                         ; attention_bwd.py:48:21 @[ attention_bwd.py:200:26 ]
	v_lshlrev_b32_e32 v35, 1, v98
	s_mov_b32 s4, 0
.LBB0_66:                               ; %Flow3529
	.loc	1 0 21 is_stmt 0                ; attention_bwd.py:0:21
	s_clause 0x1
	s_load_b128 s[44:47], s[0:1], 0x28
	s_load_b64 s[26:27], s[0:1], 0x38
	v_dual_mov_b32 v43, 0 :: v_dual_and_b32 v0, 0xc0, v0
	v_add_nc_u32_e32 v79, 0, v99
	s_lshl_b32 s14, s22, 5
	s_and_not1_b32 vcc_lo, exec_lo, s4
	s_delay_alu instid0(VALU_DEP_2)
	v_lshrrev_b32_e32 v78, 1, v0
	s_add_i32 s3, s3, -1
	s_clause 0x1f                           ; 200-byte Folded Spill
	scratch_store_b32 off, v0, off offset:2468
	scratch_store_b32 off, v66, off offset:1488
	scratch_store_b32 off, v36, off offset:1492
	scratch_store_b32 off, v37, off
	scratch_store_b32 off, v38, off offset:68
	scratch_store_b32 off, v39, off offset:72
	;; [unrolled: 1-line block ×5, first 2 shown]
	scratch_store_b64 off, v[81:82], off offset:2024
	scratch_store_b64 off, v[83:84], off offset:2032
	;; [unrolled: 1-line block ×18, first 2 shown]
	scratch_store_b32 off, v112, off offset:2136
	scratch_store_b32 off, v113, off offset:2164
	;; [unrolled: 1-line block ×5, first 2 shown]
	s_clause 0x17                           ; 196-byte Folded Spill
	scratch_store_b32 off, v117, off offset:2180
	scratch_store_b32 off, v118, off offset:2184
	scratch_store_b32 off, v127, off offset:2188
	scratch_store_b32 off, v128, off offset:2192
	scratch_store_b32 off, v129, off offset:2196
	scratch_store_b32 off, v130, off offset:2200
	scratch_store_b32 off, v131, off offset:2204
	scratch_store_b32 off, v132, off offset:2208
	scratch_store_b32 off, v133, off offset:2212
	scratch_store_b32 off, v134, off offset:2216
	scratch_store_b32 off, v135, off offset:2228
	scratch_store_b64 off, v[136:137], off offset:2232
	scratch_store_b64 off, v[138:139], off offset:2280
	;; [unrolled: 1-line block ×7, first 2 shown]
	scratch_store_b128 off, v[189:192], off offset:1656
	scratch_store_b128 off, v[193:196], off offset:1672
	;; [unrolled: 1-line block ×6, first 2 shown]
	s_cbranch_vccnz .LBB0_70
; %bb.67:                               ; %.lr.ph
	.loc	1 47 25 is_stmt 1               ; attention_bwd.py:47:25 @[ attention_bwd.py:200:26 ]
	v_add_co_u32 v0, vcc_lo, v31, v102
	s_delay_alu instid0(VALU_DEP_1) | instskip(SKIP_1) | instid1(VALU_DEP_1)
	v_add_co_ci_u32_e64 v31, null, v32, v103, vcc_lo
	v_add_co_u32 v29, vcc_lo, v29, v102
	v_add_co_ci_u32_e64 v30, null, v30, v103, vcc_lo
	v_add_co_u32 v27, vcc_lo, v27, v102
	s_delay_alu instid0(VALU_DEP_1) | instskip(SKIP_1) | instid1(VALU_DEP_1)
	v_add_co_ci_u32_e64 v28, null, v28, v103, vcc_lo
	v_add_co_u32 v25, vcc_lo, v25, v102
	v_add_co_ci_u32_e64 v26, null, v26, v103, vcc_lo
	;; [unrolled: 5-line block ×6, first 2 shown]
	v_add_co_u32 v7, vcc_lo, v7, v102
	s_delay_alu instid0(VALU_DEP_1)
	v_add_co_ci_u32_e64 v8, null, v8, v103, vcc_lo
	v_add_co_u32 v5, vcc_lo, v5, v102
	s_ashr_i32 s15, s14, 31
	v_add_co_ci_u32_e64 v6, null, v6, v103, vcc_lo
	v_add_co_u32 v3, vcc_lo, v3, v102
	s_lshl_b64 s[28:29], s[14:15], 1
	s_max_i32 s15, s3, 1
	v_add_co_ci_u32_e64 v4, null, v4, v103, vcc_lo
	v_add_co_u32 v1, vcc_lo, v102, v1
	s_add_u32 s5, s10, s28
	v_add_co_ci_u32_e64 v2, null, v103, v2, vcc_lo
	s_addc_u32 s6, s11, s29
	v_add_co_u32 v62, vcc_lo, s5, v0
	s_delay_alu instid0(VALU_DEP_1) | instskip(SKIP_1) | instid1(VALU_DEP_1)
	v_add_co_ci_u32_e64 v117, null, s6, v31, vcc_lo
	v_add_co_u32 v29, vcc_lo, s5, v29
	v_add_co_ci_u32_e64 v30, null, s6, v30, vcc_lo
	v_add_co_u32 v27, vcc_lo, s5, v27
	s_delay_alu instid0(VALU_DEP_1) | instskip(SKIP_1) | instid1(VALU_DEP_1)
	v_add_co_ci_u32_e64 v28, null, s6, v28, vcc_lo
	v_add_co_u32 v25, vcc_lo, s5, v25
	v_add_co_ci_u32_e64 v26, null, s6, v26, vcc_lo
	;; [unrolled: 5-line block ×8, first 2 shown]
	v_add_co_u32 v0, vcc_lo, v148, v81
	s_delay_alu instid0(VALU_DEP_1) | instskip(SKIP_3) | instid1(VALU_DEP_1)
	v_add_co_ci_u32_e64 v1, null, v149, v82, vcc_lo
	s_add_u32 s5, s16, s28
	s_addc_u32 s6, s17, s29
	v_add_co_u32 v4, vcc_lo, s5, v0
	v_add_co_ci_u32_e64 v5, null, s6, v1, vcc_lo
	v_add_co_u32 v0, vcc_lo, v146, v81
	s_delay_alu instid0(VALU_DEP_1) | instskip(SKIP_1) | instid1(VALU_DEP_1)
	v_add_co_ci_u32_e64 v1, null, v147, v82, vcc_lo
	v_add_co_u32 v2, vcc_lo, v144, v81
	v_add_co_ci_u32_e64 v3, null, v145, v82, vcc_lo
	s_delay_alu instid0(VALU_DEP_4) | instskip(NEXT) | instid1(VALU_DEP_1)
	v_add_co_u32 v6, vcc_lo, s5, v0
	v_add_co_ci_u32_e64 v7, null, s6, v1, vcc_lo
	s_delay_alu instid0(VALU_DEP_4) | instskip(NEXT) | instid1(VALU_DEP_1)
	v_add_co_u32 v8, vcc_lo, s5, v2
	v_add_co_ci_u32_e64 v9, null, s6, v3, vcc_lo
	v_add_co_u32 v0, vcc_lo, v142, v81
	s_delay_alu instid0(VALU_DEP_1) | instskip(SKIP_1) | instid1(VALU_DEP_1)
	v_add_co_ci_u32_e64 v1, null, v143, v82, vcc_lo
	v_add_co_u32 v2, vcc_lo, v140, v81
	v_add_co_ci_u32_e64 v3, null, v141, v82, vcc_lo
	s_delay_alu instid0(VALU_DEP_4) | instskip(NEXT) | instid1(VALU_DEP_1)
	v_add_co_u32 v10, vcc_lo, s5, v0
	v_add_co_ci_u32_e64 v11, null, s6, v1, vcc_lo
	s_delay_alu instid0(VALU_DEP_4) | instskip(NEXT) | instid1(VALU_DEP_1)
	;; [unrolled: 11-line block ×7, first 2 shown]
	v_add_co_u32 v56, vcc_lo, s5, v2
	v_add_co_ci_u32_e64 v3, null, s6, v3, vcc_lo
	v_add_co_u32 v0, vcc_lo, v81, v83
	v_dual_mov_b32 v45, 0 :: v_dual_add_nc_u32 v2, 0, v41
	v_add_co_ci_u32_e64 v1, null, v82, v84, vcc_lo
	s_delay_alu instid0(VALU_DEP_3) | instskip(NEXT) | instid1(VALU_DEP_3)
	v_add_co_u32 v72, vcc_lo, s5, v0
	v_dual_mov_b32 v47, v45 :: v_dual_add_nc_u32 v0, v2, v40
	v_dual_mov_b32 v2, v36 :: v_dual_mov_b32 v49, v45
	v_mov_b32_e32 v46, v45
	s_clause 0x4                            ; 20-byte Folded Spill
	scratch_store_b32 off, v0, off offset:1948
	scratch_store_b32 off, v41, off offset:2492
	;; [unrolled: 1-line block ×5, first 2 shown]
	v_lshl_add_u32 v0, v165, 3, v79
	v_dual_mov_b32 v48, v45 :: v_dual_mov_b32 v81, v126
	v_dual_mov_b32 v51, v45 :: v_dual_add_nc_u32 v114, 0, v44
	s_delay_alu instid0(VALU_DEP_3) | instskip(SKIP_2) | instid1(VALU_DEP_4)
	v_dual_mov_b32 v50, v45 :: v_dual_add_nc_u32 v113, v0, v44
	v_dual_mov_b32 v52, v45 :: v_dual_mov_b32 v89, v231
	v_dual_mov_b32 v36, v45 :: v_dual_mov_b32 v83, v247
	v_dual_mov_b32 v37, v45 :: v_dual_add_nc_u32 v118, v114, v78
	v_dual_mov_b32 v38, v45 :: v_dual_mov_b32 v87, v234
	v_dual_mov_b32 v39, v45 :: v_dual_mov_b32 v96, v230
	v_mov_b32_e32 v40, v45
	v_dual_mov_b32 v41, v45 :: v_dual_mov_b32 v88, v246
	v_mov_b32_e32 v42, v45
	v_dual_mov_b32 v43, v45 :: v_dual_mov_b32 v86, v232
	v_mov_b32_e32 v126, v45
	v_mov_b32_e32 v127, v45
	v_mov_b32_e32 v128, v45
	;; [unrolled: 1-line block ×29, first 2 shown]
	v_dual_mov_b32 v254, v45 :: v_dual_add_nc_u32 v115, v114, v69
	s_clause 0x9                            ; 136-byte Folded Spill
	scratch_store_b128 off, v[45:48], off offset:296
	scratch_store_b128 off, v[49:52], off offset:312
	scratch_store_b32 off, v233, off offset:1952
	scratch_store_b32 off, v172, off offset:1944
	scratch_store_b128 off, v[157:160], off offset:1496
	scratch_store_b128 off, v[161:164], off offset:1512
	;; [unrolled: 1-line block ×6, first 2 shown]
	scratch_load_b32 v78, off, off offset:1952 ; 4-byte Folded Reload
	v_add_co_ci_u32_e64 v1, null, s6, v1, vcc_lo
	v_mov_b32_e32 v82, v245
	v_mov_b32_e32 v84, v229
	v_mov_b32_e32 v85, v237
	s_mov_b32 s4, 0
	s_mov_b64 s[16:17], s[20:21]
	s_mov_b32 s5, s4
	s_mov_b32 s6, s4
	;; [unrolled: 1-line block ×7, first 2 shown]
	s_mov_b64 s[30:31], s[24:25]
	s_clause 0x9                            ; 136-byte Folded Spill
	scratch_store_b32 off, v165, off offset:2472
	scratch_store_b32 off, v79, off offset:2480
	scratch_store_b128 off, v[36:39], off offset:328
	scratch_store_b128 off, v[40:43], off offset:344
	scratch_store_b128 off, v[36:39], off offset:360
	scratch_store_b128 off, v[40:43], off offset:376
	scratch_store_b128 off, v[213:216], off offset:1424
	scratch_store_b128 off, v[217:220], off offset:1440
	scratch_store_b128 off, v[221:224], off offset:1456
	scratch_store_b128 off, v[225:228], off offset:1472
	v_mov_b32_e32 v255, v45
.LBB0_68:                               ; =>This Inner Loop Header: Depth=1
	.loc	1 72 19                         ; attention_bwd.py:72:19 @[ attention_bwd.py:200:26 ]
	s_clause 0x1f                           ; 224-byte Folded Spill
	scratch_store_b32 off, v97, off offset:244
	scratch_store_b32 off, v153, off offset:292
	;; [unrolled: 1-line block ×17, first 2 shown]
	scratch_store_b128 off, v[248:251], off offset:76
	scratch_store_b128 off, v[252:255], off offset:92
	;; [unrolled: 1-line block ×8, first 2 shown]
	scratch_store_b32 off, v1, off offset:4
	scratch_store_b32 off, v56, off offset:964
	;; [unrolled: 1-line block ×7, first 2 shown]
	s_clause 0x1f                           ; 128-byte Folded Spill
	scratch_store_b32 off, v53, off offset:940
	scratch_store_b32 off, v35, off offset:936
	;; [unrolled: 1-line block ×32, first 2 shown]
	s_clause 0xe                            ; 84-byte Folded Spill
	scratch_store_b32 off, v59, off offset:704
	scratch_store_b32 off, v58, off offset:696
	;; [unrolled: 1-line block ×13, first 2 shown]
	scratch_store_b128 off, v[36:39], off offset:36
	scratch_store_b128 off, v[40:43], off offset:52
	scratch_load_b32 v1, off, off offset:4  ; 4-byte Folded Reload
	v_add_co_u32 v0, vcc_lo, v72, s34
	v_mov_b32_e32 v75, v29
	v_dual_mov_b32 v73, v27 :: v_dual_mov_b32 v74, v28
	v_mov_b32_e32 v79, v72
	s_waitcnt vmcnt(0)
	v_add_co_ci_u32_e64 v1, null, s35, v1, vcc_lo
	.loc	1 48 21                         ; attention_bwd.py:48:21 @[ attention_bwd.py:200:26 ]
	global_load_u16 v0, v[0:1], off
	.loc	1 72 19                         ; attention_bwd.py:72:19 @[ attention_bwd.py:200:26 ]
	s_waitcnt vmcnt(0)
	scratch_store_b32 off, v0, off offset:984 ; 4-byte Folded Spill
	v_add_co_u32 v0, vcc_lo, v56, s34
	s_delay_alu instid0(VALU_DEP_1) | instskip(SKIP_4) | instid1(VALU_DEP_1)
	v_add_co_ci_u32_e64 v1, null, s35, v3, vcc_lo
	.loc	1 48 21                         ; attention_bwd.py:48:21 @[ attention_bwd.py:200:26 ]
	global_load_u16 v0, v[0:1], off
	.loc	1 72 19                         ; attention_bwd.py:72:19 @[ attention_bwd.py:200:26 ]
	s_waitcnt vmcnt(0)
	scratch_store_b32 off, v0, off offset:992 ; 4-byte Folded Spill
	v_add_co_u32 v0, vcc_lo, v55, s34
	v_add_co_ci_u32_e64 v1, null, s35, v2, vcc_lo
	.loc	1 48 21                         ; attention_bwd.py:48:21 @[ attention_bwd.py:200:26 ]
	global_load_u16 v0, v[0:1], off
	.loc	1 72 19                         ; attention_bwd.py:72:19 @[ attention_bwd.py:200:26 ]
	s_waitcnt vmcnt(0)
	scratch_store_b32 off, v0, off offset:996 ; 4-byte Folded Spill
	v_add_co_u32 v0, vcc_lo, v53, s34
	s_delay_alu instid0(VALU_DEP_1)
	v_add_co_ci_u32_e64 v1, null, s35, v54, vcc_lo
	.loc	1 52 24                         ; attention_bwd.py:52:24 @[ attention_bwd.py:200:26 ]
	v_dual_mov_b32 v56, s11 :: v_dual_mov_b32 v55, s10
	v_dual_mov_b32 v54, s9 :: v_dual_mov_b32 v53, s8
	.loc	1 48 21                         ; attention_bwd.py:48:21 @[ attention_bwd.py:200:26 ]
	global_load_u16 v0, v[0:1], off
	.loc	1 72 19                         ; attention_bwd.py:72:19 @[ attention_bwd.py:200:26 ]
	scratch_store_b32 off, v2, off offset:972 ; 4-byte Folded Spill
	.loc	1 52 24                         ; attention_bwd.py:52:24 @[ attention_bwd.py:200:26 ]
	v_dual_mov_b32 v52, s7 :: v_dual_mov_b32 v51, s6
	v_dual_mov_b32 v50, s5 :: v_dual_mov_b32 v49, s4
	;; [unrolled: 1-line block ×4, first 2 shown]
	s_delay_alu instid0(VALU_DEP_4) | instskip(NEXT) | instid1(VALU_DEP_4)
	v_dual_mov_b32 v176, v52 :: v_dual_mov_b32 v175, v51
	v_dual_mov_b32 v174, v50 :: v_dual_mov_b32 v173, v49
	.loc	1 72 19                         ; attention_bwd.py:72:19 @[ attention_bwd.py:200:26 ]
	s_waitcnt vmcnt(0)
	scratch_store_b32 off, v0, off offset:976 ; 4-byte Folded Spill
	v_add_co_u32 v0, vcc_lo, v34, s34
	s_delay_alu instid0(VALU_DEP_1) | instskip(SKIP_4) | instid1(VALU_DEP_1)
	v_add_co_ci_u32_e64 v1, null, s35, v35, vcc_lo
	.loc	1 48 21                         ; attention_bwd.py:48:21 @[ attention_bwd.py:200:26 ]
	global_load_u16 v0, v[0:1], off
	.loc	1 72 19                         ; attention_bwd.py:72:19 @[ attention_bwd.py:200:26 ]
	s_waitcnt vmcnt(0)
	scratch_store_b32 off, v0, off offset:1000 ; 4-byte Folded Spill
	v_add_co_u32 v0, vcc_lo, v32, s34
	v_add_co_ci_u32_e64 v1, null, s35, v33, vcc_lo
	.loc	1 48 21                         ; attention_bwd.py:48:21 @[ attention_bwd.py:200:26 ]
	global_load_u16 v0, v[0:1], off
	.loc	1 72 19                         ; attention_bwd.py:72:19 @[ attention_bwd.py:200:26 ]
	s_waitcnt vmcnt(0)
	scratch_store_b32 off, v0, off offset:1004 ; 4-byte Folded Spill
	v_add_co_u32 v0, vcc_lo, v22, s34
	s_delay_alu instid0(VALU_DEP_1) | instskip(SKIP_4) | instid1(VALU_DEP_1)
	v_add_co_ci_u32_e64 v1, null, s35, v23, vcc_lo
	.loc	1 48 21                         ; attention_bwd.py:48:21 @[ attention_bwd.py:200:26 ]
	global_load_u16 v0, v[0:1], off
	.loc	1 72 19                         ; attention_bwd.py:72:19 @[ attention_bwd.py:200:26 ]
	s_waitcnt vmcnt(0)
	scratch_store_b32 off, v0, off offset:1012 ; 4-byte Folded Spill
	v_add_co_u32 v0, vcc_lo, v20, s34
	v_add_co_ci_u32_e64 v1, null, s35, v21, vcc_lo
	.loc	1 48 21                         ; attention_bwd.py:48:21 @[ attention_bwd.py:200:26 ]
	global_load_u16 v0, v[0:1], off
	;; [unrolled: 15-line block ×6, first 2 shown]
	.loc	1 69 26                         ; attention_bwd.py:69:26 @[ attention_bwd.py:200:26 ]
	s_waitcnt vmcnt(0)
	scratch_store_b32 off, v0, off offset:1008 ; 4-byte Folded Spill
	s_waitcnt lgkmcnt(0)
	s_waitcnt_vscnt null, 0x0
	s_barrier
	buffer_gl0_inv
	s_clause 0x3                            ; 64-byte Folded Reload
	scratch_load_b128 v[134:137], off, off offset:1912
	scratch_load_b128 v[138:141], off, off offset:1928
	;; [unrolled: 1-line block ×4, first 2 shown]
	.loc	1 48 21                         ; attention_bwd.py:48:21 @[ attention_bwd.py:200:26 ]
	ds_load_u16 v44, v114 offset:1536
	ds_load_u16 v45, v114 offset:1664
	;; [unrolled: 1-line block ×10, first 2 shown]
	ds_load_u16 v8, v114
	ds_load_u16 v46, v114 offset:1792
	ds_load_u16 v47, v114 offset:1920
	;; [unrolled: 1-line block ×8, first 2 shown]
	s_waitcnt lgkmcnt(16)
	ds_load_u16_d16_hi v35, v114 offset:1504
	ds_load_u16 v33, v114 offset:1184
	ds_load_u16 v0, v114 offset:32
	s_waitcnt lgkmcnt(11)
	ds_load_u16_d16_hi v8, v114 offset:64
	ds_load_u16_d16_hi v9, v114 offset:192
	s_waitcnt lgkmcnt(2)
	ds_load_u16_d16_hi v0, v114 offset:96
	ds_load_u16 v2, v114 offset:288
	ds_load_u16 v3, v114 offset:416
	;; [unrolled: 1-line block ×5, first 2 shown]
	ds_load_u16_d16_hi v10, v114 offset:320
	ds_load_u16_d16_hi v11, v114 offset:448
	;; [unrolled: 1-line block ×4, first 2 shown]
	ds_load_u16 v16, v114 offset:2048
	ds_load_u16_d16_hi v47, v114 offset:1984
	ds_load_u16_d16_hi v43, v114 offset:1472
	ds_load_u16_d16_hi v44, v114 offset:1600
	ds_load_u16 v37, v114 offset:1696
	ds_load_u16 v36, v114 offset:1568
	;; [unrolled: 1-line block ×5, first 2 shown]
	ds_load_u16_d16_hi v46, v114 offset:1856
	ds_load_u16_d16_hi v45, v114 offset:1728
	;; [unrolled: 1-line block ×8, first 2 shown]
	ds_load_u16 v6, v114 offset:800
	ds_load_u16 v7, v114 offset:928
	s_clause 0x1                            ; 32-byte Folded Spill
	scratch_store_b128 off, v[173:176], off offset:1040
	scratch_store_b128 off, v[177:180], off offset:1056
	s_clause 0x3                            ; 64-byte Folded Reload
	scratch_load_b128 v[142:145], off, off offset:1816
	scratch_load_b128 v[146:149], off, off offset:1832
	;; [unrolled: 1-line block ×4, first 2 shown]
	s_waitcnt lgkmcnt(25)
	ds_load_u16_d16_hi v4, v114 offset:608
	ds_load_u16_d16_hi v3, v114 offset:480
	;; [unrolled: 1-line block ×3, first 2 shown]
	s_waitcnt lgkmcnt(26)
	ds_load_u16_d16_hi v1, v114 offset:224
	ds_load_u16_d16_hi v34, v114 offset:1376
	ds_load_u16_d16_hi v32, v114 offset:1120
	s_waitcnt lgkmcnt(20)
	ds_load_u16_d16_hi v37, v114 offset:1760
	s_waitcnt lgkmcnt(19)
	ds_load_u16_d16_hi v39, v114 offset:2016
	ds_load_u16_d16_hi v16, v114 offset:2112
	s_waitcnt lgkmcnt(19)
	ds_load_u16_d16_hi v38, v114 offset:1888
	ds_load_u16_d16_hi v5, v114 offset:736
	;; [unrolled: 1-line block ×3, first 2 shown]
	s_waitcnt lgkmcnt(13)
	ds_load_u16_d16_hi v6, v114 offset:864
	s_waitcnt lgkmcnt(13)
	ds_load_u16_d16_hi v7, v114 offset:992
	.loc	1 58 21                         ; attention_bwd.py:58:21 @[ attention_bwd.py:200:26 ]
	ds_load_u16 v97, v115 offset:12800
	.loc	1 52 24                         ; attention_bwd.py:52:24 @[ attention_bwd.py:200:26 ]
	s_waitcnt vmcnt(6)
	v_wmma_f32_16x16x16_f16 v[200:207], v[8:15], v[134:141], v[49:56]
	.loc	1 48 21                         ; attention_bwd.py:48:21 @[ attention_bwd.py:200:26 ]
	ds_load_u16 v17, v114 offset:2176
	ds_load_u16 v18, v114 offset:2304
	;; [unrolled: 1-line block ×10, first 2 shown]
	s_waitcnt lgkmcnt(9)
	ds_load_u16_d16_hi v17, v114 offset:2240
	s_waitcnt lgkmcnt(9)
	ds_load_u16_d16_hi v18, v114 offset:2368
	ds_load_u16 v50, v114 offset:2336
	s_waitcnt lgkmcnt(7)
	ds_load_u16_d16_hi v19, v114 offset:2496
	ds_load_u16 v52, v114 offset:2592
	ds_load_u16 v8, v114 offset:3072
	;; [unrolled: 1-line block ×4, first 2 shown]
	s_waitcnt lgkmcnt(11)
	ds_load_u16_d16_hi v20, v114 offset:2624
	ds_load_u16_d16_hi v21, v114 offset:2752
	;; [unrolled: 1-line block ×4, first 2 shown]
	s_waitcnt lgkmcnt(14)
	ds_load_u16_d16_hi v54, v114 offset:2912
	ds_load_u16_d16_hi v48, v114 offset:2144
	s_waitcnt lgkmcnt(14)
	ds_load_u16_d16_hi v49, v114 offset:2272
	.loc	1 52 24                         ; attention_bwd.py:52:24 @[ attention_bwd.py:200:26 ]
	s_waitcnt vmcnt(4)
	v_wmma_f32_16x16x16_f16 v[200:207], v[40:47], v[157:164], v[200:207]
	s_clause 0x1                            ; 32-byte Folded Reload
	scratch_load_b128 v[40:43], off, off offset:1848
	scratch_load_b128 v[44:47], off, off offset:1864
	.loc	1 48 21                         ; attention_bwd.py:48:21 @[ attention_bwd.py:200:26 ]
	s_waitcnt lgkmcnt(12)
	ds_load_u16_d16_hi v50, v114 offset:2400
	s_waitcnt lgkmcnt(9)
	ds_load_u16_d16_hi v53, v114 offset:2784
	ds_load_u16_d16_hi v52, v114 offset:2656
	s_waitcnt lgkmcnt(10)
	ds_load_u16_d16_hi v51, v114 offset:2528
	.loc	1 52 24                         ; attention_bwd.py:52:24 @[ attention_bwd.py:200:26 ]
	v_wmma_f32_16x16x16_f16 v[224:231], v[0:7], v[134:141], v[173:180]
	s_clause 0x1                            ; 32-byte Folded Reload
	scratch_load_b128 v[134:137], off, off offset:1752
	scratch_load_b128 v[138:141], off, off offset:1768
	v_wmma_f32_16x16x16_f16 v[224:231], v[32:39], v[157:164], v[224:231]
	s_waitcnt vmcnt(2) lgkmcnt(7)
	v_wmma_f32_16x16x16_f16 v[200:207], v[16:23], v[40:47], v[200:207]
	.loc	1 48 21                         ; attention_bwd.py:48:21 @[ attention_bwd.py:200:26 ]
	ds_load_u16 v10, v114 offset:3328
	ds_load_u16 v11, v114 offset:3456
	;; [unrolled: 1-line block ×12, first 2 shown]
	s_waitcnt lgkmcnt(5)
	ds_load_u16_d16_hi v249, v114 offset:3680
	ds_load_u16 v9, v114 offset:3200
	ds_load_u16_d16_hi v10, v114 offset:3392
	ds_load_u16_d16_hi v11, v114 offset:3520
	;; [unrolled: 1-line block ×4, first 2 shown]
	ds_load_u16 v250, v114 offset:3744
	ds_load_u16_d16_hi v14, v114 offset:3904
	ds_load_u16 v251, v114 offset:3872
	ds_load_u16_d16_hi v15, v114 offset:4032
	ds_load_u16 v208, v114 offset:4128
	ds_load_u16 v209, v114 offset:4256
	;; [unrolled: 1-line block ×6, first 2 shown]
	ds_load_u16_d16_hi v8, v114 offset:3136
	ds_load_u16 v245, v114 offset:3104
	ds_load_u16_d16_hi v55, v114 offset:3040
	ds_load_u16 v247, v114 offset:3360
	ds_load_u16 v246, v114 offset:3232
	s_waitcnt lgkmcnt(19)
	ds_load_u16_d16_hi v9, v114 offset:3264
	s_waitcnt lgkmcnt(4)
	ds_load_u16_d16_hi v245, v114 offset:3168
	ds_load_u16_d16_hi v248, v114 offset:3552
	s_waitcnt lgkmcnt(4)
	ds_load_u16_d16_hi v247, v114 offset:3424
	s_waitcnt lgkmcnt(4)
	ds_load_u16_d16_hi v246, v114 offset:3296
	.loc	1 52 24                         ; attention_bwd.py:52:24 @[ attention_bwd.py:200:26 ]
	v_wmma_f32_16x16x16_f16 v[224:231], v[48:55], v[40:47], v[224:231]
	s_clause 0x1                            ; 32-byte Folded Reload
	scratch_load_b128 v[41:44], off, off offset:1624
	scratch_load_b128 v[45:48], off, off offset:1640
	s_waitcnt lgkmcnt(4)
	v_wmma_f32_16x16x16_f16 v[200:207], v[8:15], v[142:149], v[200:207]
	.loc	1 48 21                         ; attention_bwd.py:48:21 @[ attention_bwd.py:200:26 ]
	ds_load_u16 v22, v114 offset:4864
	ds_load_u16 v23, v114 offset:4992
	;; [unrolled: 1-line block ×5, first 2 shown]
	ds_load_u16_d16_hi v16, v114 offset:4160
	ds_load_u16_d16_hi v17, v114 offset:4288
	;; [unrolled: 1-line block ×4, first 2 shown]
	s_waitcnt lgkmcnt(8)
	ds_load_u16_d16_hi v22, v114 offset:4928
	s_waitcnt lgkmcnt(8)
	ds_load_u16_d16_hi v23, v114 offset:5056
	ds_load_u16_d16_hi v20, v114 offset:4672
	ds_load_u16 v212, v114 offset:4640
	ds_load_u16 v214, v114 offset:4896
	;; [unrolled: 1-line block ×7, first 2 shown]
	s_waitcnt lgkmcnt(14)
	ds_load_u16_d16_hi v21, v114 offset:4800
	ds_load_u16_d16_hi v250, v114 offset:3808
	;; [unrolled: 1-line block ×8, first 2 shown]
	ds_load_u16 v12, v114 offset:5632
	ds_load_u16 v13, v114 offset:5760
	;; [unrolled: 1-line block ×7, first 2 shown]
	s_waitcnt lgkmcnt(21)
	ds_load_u16_d16_hi v212, v114 offset:4704
	s_waitcnt lgkmcnt(20)
	ds_load_u16_d16_hi v215, v114 offset:5088
	ds_load_u16_d16_hi v9, v114 offset:5312
	;; [unrolled: 1-line block ×4, first 2 shown]
	s_waitcnt lgkmcnt(20)
	ds_load_u16_d16_hi v213, v114 offset:4832
	.loc	1 52 24                         ; attention_bwd.py:52:24 @[ attention_bwd.py:200:26 ]
	s_waitcnt lgkmcnt(20)
	v_wmma_f32_16x16x16_f16 v[200:207], v[16:23], v[126:133], v[200:207]
	s_clause 0x1                            ; 32-byte Folded Reload
	scratch_load_b128 v[16:19], off, off offset:1592
	scratch_load_b128 v[20:23], off, off offset:1608
	.loc	1 48 21                         ; attention_bwd.py:48:21 @[ attention_bwd.py:200:26 ]
	s_waitcnt lgkmcnt(12)
	ds_load_u16_d16_hi v12, v114 offset:5696
	s_waitcnt lgkmcnt(12)
	ds_load_u16_d16_hi v13, v114 offset:5824
	s_waitcnt lgkmcnt(12)
	ds_load_u16_d16_hi v14, v114 offset:5952
	s_waitcnt lgkmcnt(12)
	ds_load_u16_d16_hi v15, v114 offset:6080
	ds_load_u16_d16_hi v10, v114 offset:5440
	ds_load_u16 v218, v114 offset:5408
	ds_load_u16 v0, v114 offset:6144
	;; [unrolled: 1-line block ×5, first 2 shown]
	s_waitcnt lgkmcnt(18)
	ds_load_u16_d16_hi v11, v114 offset:5568
	s_waitcnt lgkmcnt(18)
	ds_load_u16_d16_hi v222, v114 offset:5984
	ds_load_u16_d16_hi v217, v114 offset:5344
	.loc	1 52 24                         ; attention_bwd.py:52:24 @[ attention_bwd.py:200:26 ]
	v_wmma_f32_16x16x16_f16 v[224:231], v[245:252], v[142:149], v[224:231]
	.loc	1 48 21                         ; attention_bwd.py:48:21 @[ attention_bwd.py:200:26 ]
	s_waitcnt lgkmcnt(7)
	ds_load_u16_d16_hi v218, v114 offset:5472
	s_waitcnt lgkmcnt(6)
	ds_load_u16_d16_hi v221, v114 offset:5856
	s_waitcnt lgkmcnt(6)
	ds_load_u16_d16_hi v220, v114 offset:5728
	s_waitcnt lgkmcnt(6)
	ds_load_u16_d16_hi v219, v114 offset:5600
	.loc	1 52 24                         ; attention_bwd.py:52:24 @[ attention_bwd.py:200:26 ]
	s_waitcnt vmcnt(4) lgkmcnt(6)
	v_wmma_f32_16x16x16_f16 v[200:207], v[8:15], v[134:141], v[200:207]
	.loc	1 48 21                         ; attention_bwd.py:48:21 @[ attention_bwd.py:200:26 ]
	ds_load_u16 v2, v114 offset:6400
	ds_load_u16 v3, v114 offset:6528
	ds_load_u16 v4, v114 offset:6656
	ds_load_u16 v7, v114 offset:7040
	ds_load_u16 v6, v114 offset:6912
	ds_load_u16 v5, v114 offset:6784
	ds_load_u16 v237, v114 offset:6688
	ds_load_u16 v236, v114 offset:6560
	ds_load_u16 v8, v114 offset:7168
	ds_load_u16 v9, v114 offset:7296
	ds_load_u16 v10, v114 offset:7424
	ds_load_u16 v11, v114 offset:7552
	ds_load_u16 v14, v114 offset:7936
	ds_load_u16 v15, v114 offset:8064
	.loc	1 58 21                         ; attention_bwd.py:58:21 @[ attention_bwd.py:200:26 ]
	ds_load_u16 v232, v115 offset:8192
	.loc	1 48 21                         ; attention_bwd.py:48:21 @[ attention_bwd.py:200:26 ]
	ds_load_u16 v13, v114 offset:7808
	s_waitcnt lgkmcnt(7)
	ds_load_u16_d16_hi v8, v114 offset:7232
	s_waitcnt lgkmcnt(7)
	ds_load_u16_d16_hi v9, v114 offset:7360
	s_waitcnt lgkmcnt(7)
	ds_load_u16_d16_hi v10, v114 offset:7488
	s_waitcnt lgkmcnt(7)
	ds_load_u16_d16_hi v11, v114 offset:7616
	ds_load_u16_d16_hi v237, v114 offset:6752
	ds_load_u16 v1, v114 offset:6272
	ds_load_u16_d16_hi v2, v114 offset:6464
	ds_load_u16_d16_hi v3, v114 offset:6592
	;; [unrolled: 1-line block ×4, first 2 shown]
	ds_load_u16 v238, v114 offset:6816
	ds_load_u16_d16_hi v6, v114 offset:6976
	ds_load_u16 v239, v114 offset:6944
	ds_load_u16_d16_hi v7, v114 offset:7104
	ds_load_u16 v241, v114 offset:7200
	ds_load_u16 v242, v114 offset:7328
	;; [unrolled: 1-line block ×6, first 2 shown]
	ds_load_u16_d16_hi v0, v114 offset:6208
	ds_load_u16 v233, v114 offset:6176
	ds_load_u16_d16_hi v223, v114 offset:6112
	ds_load_u16 v235, v114 offset:6432
	ds_load_u16 v234, v114 offset:6304
	s_waitcnt lgkmcnt(28)
	ds_load_u16_d16_hi v14, v114 offset:8000
	s_waitcnt lgkmcnt(28)
	ds_load_u16_d16_hi v15, v114 offset:8128
	;; [unrolled: 2-line block ×3, first 2 shown]
	ds_load_u16 v245, v114 offset:7712
	ds_load_u16 v247, v114 offset:7968
	;; [unrolled: 1-line block ×3, first 2 shown]
	.loc	1 58 21                         ; attention_bwd.py:58:21 @[ attention_bwd.py:200:26 ]
	ds_load_u16_d16_hi v232, v115 offset:8448
	ds_load_u16 v32, v115 offset:8256
	.loc	1 48 21                         ; attention_bwd.py:48:21 @[ attention_bwd.py:200:26 ]
	ds_load_u16 v246, v114 offset:7840
	ds_load_u16_d16_hi v13, v114 offset:7872
	ds_load_u16_d16_hi v238, v114 offset:6880
	;; [unrolled: 1-line block ×6, first 2 shown]
	s_waitcnt lgkmcnt(20)
	ds_load_u16_d16_hi v240, v114 offset:7136
	ds_load_u16_d16_hi v244, v114 offset:7648
	;; [unrolled: 1-line block ×4, first 2 shown]
	s_waitcnt lgkmcnt(22)
	ds_load_u16_d16_hi v233, v114 offset:6240
	ds_load_u16_d16_hi v236, v114 offset:6624
	s_waitcnt lgkmcnt(22)
	ds_load_u16_d16_hi v235, v114 offset:6496
	s_waitcnt lgkmcnt(22)
	;; [unrolled: 2-line block ×4, first 2 shown]
	ds_load_u16_d16_hi v248, v114 offset:8160
	.loc	1 58 21                         ; attention_bwd.py:58:21 @[ attention_bwd.py:200:26 ]
	s_waitcnt lgkmcnt(17)
	ds_load_u16_d16_hi v32, v115 offset:8512
	ds_load_u16 v40, v115 offset:8320
	.loc	1 48 21                         ; attention_bwd.py:48:21 @[ attention_bwd.py:200:26 ]
	ds_load_u16_d16_hi v247, v114 offset:8032
	s_waitcnt lgkmcnt(19)
	ds_load_u16_d16_hi v246, v114 offset:7904
	.loc	1 52 24                         ; attention_bwd.py:52:24 @[ attention_bwd.py:200:26 ]
	v_wmma_f32_16x16x16_f16 v[224:231], v[208:215], v[126:133], v[224:231]
	s_waitcnt lgkmcnt(11)
	s_delay_alu instid0(VALU_DEP_1)
	v_wmma_f32_16x16x16_f16 v[224:231], v[216:223], v[134:141], v[224:231]
	s_waitcnt vmcnt(0) lgkmcnt(10)
	v_wmma_f32_16x16x16_f16 v[200:207], v[0:7], v[16:23], v[200:207]
	v_dual_mov_b32 v0, v85 :: v_dual_mov_b32 v1, v87
	s_waitcnt lgkmcnt(6)
	v_wmma_f32_16x16x16_f16 v[224:231], v[233:240], v[16:23], v[224:231]
	v_dual_mov_b32 v2, v86 :: v_dual_mov_b32 v3, v84
	v_wmma_f32_16x16x16_f16 v[200:207], v[8:15], v[41:48], v[200:207]
	v_dual_mov_b32 v4, v83 :: v_dual_mov_b32 v5, v88
	s_waitcnt lgkmcnt(0)
	v_wmma_f32_16x16x16_f16 v[224:231], v[241:248], v[41:48], v[224:231]
	v_dual_mov_b32 v6, v82 :: v_dual_mov_b32 v7, v89
	.loc	1 53 32                         ; attention_bwd.py:53:32 @[ attention_bwd.py:200:26 ]
	v_dual_sub_f32 v8, v200, v0 :: v_dual_sub_f32 v9, v201, v1
	v_dual_mov_b32 v0, v96 :: v_dual_mov_b32 v1, v81
	v_dual_sub_f32 v2, v202, v2 :: v_dual_sub_f32 v3, v203, v3
	v_dual_sub_f32 v4, v204, v4 :: v_dual_sub_f32 v5, v205, v5
	s_delay_alu instid0(VALU_DEP_3) | instskip(SKIP_1) | instid1(VALU_DEP_1)
	v_dual_sub_f32 v16, v224, v0 :: v_dual_sub_f32 v17, v225, v1
	.loc	1 51 24                         ; attention_bwd.py:51:24 @[ attention_bwd.py:200:26 ]
	v_add_co_u32 v0, s49, s30, v78
	v_add_co_ci_u32_e64 v1, null, s31, 0, s49
	.loc	1 53 32                         ; attention_bwd.py:53:32 @[ attention_bwd.py:200:26 ]
	v_dual_sub_f32 v6, v206, v6 :: v_dual_sub_f32 v7, v207, v7
	v_dual_mov_b32 v10, v171 :: v_dual_mov_b32 v11, v170
	.loc	1 51 20                         ; attention_bwd.py:51:20 @[ attention_bwd.py:200:26 ]
	global_load_b32 v18, v[0:1], off offset:128
	v_dual_mov_b32 v12, v169 :: v_dual_mov_b32 v13, v168
	v_dual_mov_b32 v14, v167 :: v_dual_mov_b32 v15, v166
	.loc	1 53 32                         ; attention_bwd.py:53:32 @[ attention_bwd.py:200:26 ]
	v_dual_sub_f32 v10, v226, v10 :: v_dual_sub_f32 v11, v227, v11
	s_delay_alu instid0(VALU_DEP_3) | instskip(NEXT) | instid1(VALU_DEP_3)
	v_dual_sub_f32 v12, v228, v12 :: v_dual_sub_f32 v13, v229, v13
	v_dual_sub_f32 v14, v230, v14 :: v_dual_sub_f32 v15, v231, v15
	.loc	1 58 21                         ; attention_bwd.py:58:21 @[ attention_bwd.py:200:26 ]
	ds_load_u16 v233, v115 offset:8704
	.loc	1 47 25                         ; attention_bwd.py:47:25 @[ attention_bwd.py:200:26 ]
	s_add_u32 s30, s30, 0x80
	s_addc_u32 s31, s31, 0
	.loc	1 51 20                         ; attention_bwd.py:51:20 @[ attention_bwd.py:200:26 ]
	s_waitcnt vmcnt(0)
	scratch_store_b32 off, v18, off offset:1296 ; 4-byte Folded Spill
	global_load_b32 v18, v[0:1], off offset:136
	s_waitcnt vmcnt(0)
	scratch_store_b32 off, v18, off offset:1300 ; 4-byte Folded Spill
	global_load_b32 v18, v[0:1], off offset:144
	;; [unrolled: 3-line block ×13, first 2 shown]
	s_waitcnt vmcnt(0)
	scratch_store_b32 off, v18, off offset:1388 ; 4-byte Folded Spill
	s_clause 0x1
	global_load_b32 v18, v[0:1], off offset:240
	global_load_b32 v0, v[0:1], off offset:248
	.loc	1 73 19                         ; attention_bwd.py:73:19 @[ attention_bwd.py:200:26 ]
	s_waitcnt vmcnt(0)
	scratch_store_b32 off, v0, off offset:1400 ; 4-byte Folded Spill
	v_add_co_u32 v0, vcc_lo, v110, s34
	s_delay_alu instid0(VALU_DEP_1) | instskip(SKIP_4) | instid1(VALU_DEP_1)
	v_add_co_ci_u32_e64 v1, null, s35, v111, vcc_lo
	.loc	1 58 21                         ; attention_bwd.py:58:21 @[ attention_bwd.py:200:26 ]
	global_load_u16 v0, v[0:1], off
	.loc	1 73 19                         ; attention_bwd.py:73:19 @[ attention_bwd.py:200:26 ]
	s_waitcnt vmcnt(0)
	scratch_store_b32 off, v0, off offset:1076 ; 4-byte Folded Spill
	v_add_co_u32 v0, vcc_lo, v108, s34
	v_add_co_ci_u32_e64 v1, null, s35, v109, vcc_lo
	.loc	1 58 21                         ; attention_bwd.py:58:21 @[ attention_bwd.py:200:26 ]
	global_load_u16 v0, v[0:1], off
	.loc	1 73 19                         ; attention_bwd.py:73:19 @[ attention_bwd.py:200:26 ]
	s_waitcnt vmcnt(0)
	scratch_store_b32 off, v0, off offset:1084 ; 4-byte Folded Spill
	v_add_co_u32 v0, vcc_lo, v106, s34
	s_delay_alu instid0(VALU_DEP_1) | instskip(SKIP_4) | instid1(VALU_DEP_1)
	v_add_co_ci_u32_e64 v1, null, s35, v107, vcc_lo
	.loc	1 58 21                         ; attention_bwd.py:58:21 @[ attention_bwd.py:200:26 ]
	global_load_u16 v0, v[0:1], off
	.loc	1 73 19                         ; attention_bwd.py:73:19 @[ attention_bwd.py:200:26 ]
	s_waitcnt vmcnt(0)
	scratch_store_b32 off, v0, off offset:1088 ; 4-byte Folded Spill
	v_add_co_u32 v0, vcc_lo, v116, s34
	v_add_co_ci_u32_e64 v1, null, s35, v103, vcc_lo
	.loc	1 58 21                         ; attention_bwd.py:58:21 @[ attention_bwd.py:200:26 ]
	global_load_u16 v0, v[0:1], off
	.loc	1 51 20                         ; attention_bwd.py:51:20 @[ attention_bwd.py:200:26 ]
	scratch_store_b32 off, v18, off offset:1396 ; 4-byte Folded Spill
	.loc	1 73 19                         ; attention_bwd.py:73:19 @[ attention_bwd.py:200:26 ]
	s_waitcnt vmcnt(0)
	scratch_store_b32 off, v0, off offset:1072 ; 4-byte Folded Spill
	v_add_co_u32 v0, vcc_lo, v98, s34
	s_delay_alu instid0(VALU_DEP_1) | instskip(SKIP_4) | instid1(VALU_DEP_1)
	v_add_co_ci_u32_e64 v1, null, s35, v119, vcc_lo
	.loc	1 58 21                         ; attention_bwd.py:58:21 @[ attention_bwd.py:200:26 ]
	global_load_u16 v0, v[0:1], off
	.loc	1 73 19                         ; attention_bwd.py:73:19 @[ attention_bwd.py:200:26 ]
	s_waitcnt vmcnt(0)
	scratch_store_b32 off, v0, off offset:1092 ; 4-byte Folded Spill
	v_add_co_u32 v0, vcc_lo, v77, s34
	v_add_co_ci_u32_e64 v1, null, s35, v80, vcc_lo
	v_mov_b32_e32 v77, v98
	.loc	1 58 21                         ; attention_bwd.py:58:21 @[ attention_bwd.py:200:26 ]
	global_load_u16 v0, v[0:1], off
	.loc	1 73 19                         ; attention_bwd.py:73:19 @[ attention_bwd.py:200:26 ]
	s_waitcnt vmcnt(0)
	scratch_store_b32 off, v0, off offset:1096 ; 4-byte Folded Spill
	v_add_co_u32 v0, vcc_lo, v66, s34
	s_delay_alu instid0(VALU_DEP_1)
	v_add_co_ci_u32_e64 v1, null, s35, v76, vcc_lo
	v_mov_b32_e32 v76, v30
	.loc	1 58 21                         ; attention_bwd.py:58:21 @[ attention_bwd.py:200:26 ]
	global_load_u16 v0, v[0:1], off
	.loc	1 73 19                         ; attention_bwd.py:73:19 @[ attention_bwd.py:200:26 ]
	s_waitcnt vmcnt(0)
	scratch_store_b32 off, v0, off offset:1100 ; 4-byte Folded Spill
	v_add_co_u32 v0, vcc_lo, v64, s34
	s_delay_alu instid0(VALU_DEP_1) | instskip(SKIP_4) | instid1(VALU_DEP_1)
	v_add_co_ci_u32_e64 v1, null, s35, v65, vcc_lo
	.loc	1 58 21                         ; attention_bwd.py:58:21 @[ attention_bwd.py:200:26 ]
	global_load_u16 v0, v[0:1], off
	.loc	1 73 19                         ; attention_bwd.py:73:19 @[ attention_bwd.py:200:26 ]
	s_waitcnt vmcnt(0)
	scratch_store_b32 off, v0, off offset:1080 ; 4-byte Folded Spill
	v_add_co_u32 v0, vcc_lo, v112, s34
	v_add_co_ci_u32_e64 v1, null, s35, v63, vcc_lo
	v_mov_b32_e32 v112, v103
	.loc	1 58 21                         ; attention_bwd.py:58:21 @[ attention_bwd.py:200:26 ]
	ds_load_u16 v103, v115 offset:15872
	ds_load_u16 v126, v115 offset:15424
	;; [unrolled: 1-line block ×5, first 2 shown]
	global_load_u16 v0, v[0:1], off
	.loc	1 73 19                         ; attention_bwd.py:73:19 @[ attention_bwd.py:200:26 ]
	s_waitcnt vmcnt(0)
	scratch_store_b32 off, v0, off offset:1108 ; 4-byte Folded Spill
	v_add_co_u32 v0, vcc_lo, v60, s34
	s_delay_alu instid0(VALU_DEP_1) | instskip(SKIP_4) | instid1(VALU_DEP_1)
	v_add_co_ci_u32_e64 v1, null, s35, v61, vcc_lo
	.loc	1 58 21                         ; attention_bwd.py:58:21 @[ attention_bwd.py:200:26 ]
	global_load_u16 v0, v[0:1], off
	.loc	1 73 19                         ; attention_bwd.py:73:19 @[ attention_bwd.py:200:26 ]
	s_waitcnt vmcnt(0)
	scratch_store_b32 off, v0, off offset:1112 ; 4-byte Folded Spill
	v_add_co_u32 v0, vcc_lo, v58, s34
	v_add_co_ci_u32_e64 v1, null, s35, v59, vcc_lo
	.loc	1 58 21                         ; attention_bwd.py:58:21 @[ attention_bwd.py:200:26 ]
	global_load_u16 v0, v[0:1], off
	.loc	1 73 19                         ; attention_bwd.py:73:19 @[ attention_bwd.py:200:26 ]
	s_waitcnt vmcnt(0)
	scratch_store_b32 off, v0, off offset:1116 ; 4-byte Folded Spill
	v_add_co_u32 v0, vcc_lo, v57, s34
	s_delay_alu instid0(VALU_DEP_1) | instskip(SKIP_4) | instid1(VALU_DEP_1)
	v_add_co_ci_u32_e64 v1, null, s35, v24, vcc_lo
	.loc	1 58 21                         ; attention_bwd.py:58:21 @[ attention_bwd.py:200:26 ]
	global_load_u16 v0, v[0:1], off
	.loc	1 73 19                         ; attention_bwd.py:73:19 @[ attention_bwd.py:200:26 ]
	s_waitcnt vmcnt(0)
	scratch_store_b32 off, v0, off offset:1104 ; 4-byte Folded Spill
	v_add_co_u32 v0, vcc_lo, v25, s34
	v_add_co_ci_u32_e64 v1, null, s35, v26, vcc_lo
	.loc	1 58 21                         ; attention_bwd.py:58:21 @[ attention_bwd.py:200:26 ]
	global_load_u16 v0, v[0:1], off
	.loc	1 73 19                         ; attention_bwd.py:73:19 @[ attention_bwd.py:200:26 ]
	s_waitcnt vmcnt(0)
	scratch_store_b32 off, v0, off offset:1124 ; 4-byte Folded Spill
	v_add_co_u32 v0, vcc_lo, v27, s34
	s_delay_alu instid0(VALU_DEP_1)
	v_add_co_ci_u32_e64 v1, null, s35, v28, vcc_lo
	.loc	1 58 21                         ; attention_bwd.py:58:21 @[ attention_bwd.py:200:26 ]
	ds_load_u16 v28, v115 offset:14464
	ds_load_u16 v101, v115 offset:14848
	;; [unrolled: 1-line block ×6, first 2 shown]
	global_load_u16 v0, v[0:1], off
	.loc	1 73 19                         ; attention_bwd.py:73:19 @[ attention_bwd.py:200:26 ]
	s_waitcnt vmcnt(0)
	scratch_store_b32 off, v0, off offset:1128 ; 4-byte Folded Spill
	v_add_co_u32 v0, vcc_lo, v29, s34
	s_delay_alu instid0(VALU_DEP_1)
	v_add_co_ci_u32_e64 v1, null, s35, v30, vcc_lo
	.loc	1 58 21                         ; attention_bwd.py:58:21 @[ attention_bwd.py:200:26 ]
	ds_load_u16 v29, v115 offset:14976
	ds_load_u16 v102, v115 offset:15360
	ds_load_u16 v125, v115 offset:14912
	ds_load_u16 v30, v115 offset:15488
	global_load_u16 v0, v[0:1], off
	.loc	1 48 21                         ; attention_bwd.py:48:21 @[ attention_bwd.py:200:26 ]
	s_waitcnt vmcnt(0)
	scratch_store_b32 off, v0, off offset:1132 ; 4-byte Folded Spill
	v_add_co_u32 v0, vcc_lo, v62, s34
	s_delay_alu instid0(VALU_DEP_1)
	v_add_co_ci_u32_e64 v1, null, s35, v117, vcc_lo
	.loc	1 58 21                         ; attention_bwd.py:58:21 @[ attention_bwd.py:200:26 ]
	global_load_u16 v0, v[0:1], off
	.loc	1 66 24                         ; attention_bwd.py:66:24 @[ attention_bwd.py:200:26 ]
	s_waitcnt vmcnt(0)
	scratch_store_b32 off, v0, off offset:1120 ; 4-byte Folded Spill
	v_add_nc_u32_e32 v0, 0, v172
	ds_load_b128 v[57:60], v0 offset:8192
	ds_load_b128 v[61:64], v0 offset:8208
	ds_load_b128 v[176:179], v0 offset:8224
	ds_load_b128 v[180:183], v0 offset:8240
	ds_load_b128 v[160:163], v0 offset:8256
	ds_load_b128 v[164:167], v0 offset:8272
	ds_load_b128 v[144:147], v0 offset:8288
	ds_load_b128 v[148:151], v0 offset:8304
	ds_load_b128 v[128:131], v0 offset:8320
	ds_load_b128 v[132:135], v0 offset:8336
	ds_load_b128 v[80:83], v0 offset:8352
	ds_load_b128 v[84:87], v0 offset:8368
	ds_load_b128 v[192:195], v0 offset:8384
	ds_load_b128 v[196:199], v0 offset:8400
	ds_load_b128 v[208:211], v0 offset:8416
	ds_load_b128 v[212:215], v0 offset:8432
	ds_load_b128 v[65:68], v0 offset:12288
	ds_load_b128 v[69:72], v0 offset:12304
	ds_load_b128 v[184:187], v0 offset:12320
	ds_load_b128 v[188:191], v0 offset:12336
	ds_load_b128 v[168:171], v0 offset:12352
	ds_load_b128 v[172:175], v0 offset:12368
	ds_load_b128 v[152:155], v0 offset:12384
	ds_load_b128 v[156:159], v0 offset:12400
	ds_load_b128 v[136:139], v0 offset:12416
	ds_load_b128 v[140:143], v0 offset:12432
	ds_load_b128 v[88:91], v0 offset:12448
	ds_load_b128 v[92:95], v0 offset:12464
	ds_load_b128 v[104:107], v0 offset:12480
	ds_load_b128 v[108:111], v0 offset:12496
	ds_load_b128 v[200:203], v0 offset:12512
	ds_load_b128 v[204:207], v0 offset:12528
	.loc	1 53 26                         ; attention_bwd.py:53:26 @[ attention_bwd.py:200:26 ]
	v_exp_f32_e32 v0, v8
	v_exp_f32_e32 v8, v9
	.loc	1 61 21                         ; attention_bwd.py:61:21 @[ attention_bwd.py:200:26 ]
	s_waitcnt_depctr depctr_va_vdst(0)
	v_cvt_f16_f32_e32 v1, v8
	scratch_store_b32 off, v8, off offset:1332 ; 4-byte Folded Spill
	ds_store_b16 v113, v1 offset:16640
	.loc	1 53 26                         ; attention_bwd.py:53:26 @[ attention_bwd.py:200:26 ]
	v_exp_f32_e32 v1, v3
	scratch_store_b32 off, v0, off offset:1336 ; 4-byte Folded Spill
	.loc	1 61 21                         ; attention_bwd.py:61:21 @[ attention_bwd.py:200:26 ]
	v_cvt_f16_f32_e32 v0, v0
	scratch_store_b32 off, v1, off offset:1344 ; 4-byte Folded Spill
	v_cvt_f16_f32_e32 v1, v1
	ds_store_b16 v113, v0 offset:16384
	.loc	1 53 26                         ; attention_bwd.py:53:26 @[ attention_bwd.py:200:26 ]
	v_exp_f32_e32 v0, v2
	.loc	1 61 21                         ; attention_bwd.py:61:21 @[ attention_bwd.py:200:26 ]
	ds_store_b16 v113, v1 offset:17152
	.loc	1 53 26                         ; attention_bwd.py:53:26 @[ attention_bwd.py:200:26 ]
	v_exp_f32_e32 v1, v5
	.loc	1 61 21                         ; attention_bwd.py:61:21 @[ attention_bwd.py:200:26 ]
	scratch_store_b32 off, v0, off offset:1340 ; 4-byte Folded Spill
	v_cvt_f16_f32_e32 v0, v0
	scratch_store_b32 off, v1, off offset:1352 ; 4-byte Folded Spill
	v_cvt_f16_f32_e32 v1, v1
	ds_store_b16 v113, v0 offset:16896
	.loc	1 53 26                         ; attention_bwd.py:53:26 @[ attention_bwd.py:200:26 ]
	v_exp_f32_e32 v0, v4
	.loc	1 61 21                         ; attention_bwd.py:61:21 @[ attention_bwd.py:200:26 ]
	ds_store_b16 v113, v1 offset:17664
	.loc	1 53 26                         ; attention_bwd.py:53:26 @[ attention_bwd.py:200:26 ]
	v_exp_f32_e32 v1, v7
	.loc	1 61 21                         ; attention_bwd.py:61:21 @[ attention_bwd.py:200:26 ]
	scratch_store_b32 off, v0, off offset:1348 ; 4-byte Folded Spill
	v_cvt_f16_f32_e32 v0, v0
	scratch_store_b32 off, v1, off offset:1360 ; 4-byte Folded Spill
	v_cvt_f16_f32_e32 v1, v1
	ds_store_b16 v113, v0 offset:17408
	.loc	1 53 26                         ; attention_bwd.py:53:26 @[ attention_bwd.py:200:26 ]
	v_exp_f32_e32 v0, v6
	.loc	1 61 21                         ; attention_bwd.py:61:21 @[ attention_bwd.py:200:26 ]
	scratch_store_b32 off, v0, off offset:1356 ; 4-byte Folded Spill
	v_cvt_f16_f32_e32 v0, v0
	ds_store_b16 v113, v0 offset:17920
	ds_store_b16 v113, v1 offset:18176
	.loc	1 53 26                         ; attention_bwd.py:53:26 @[ attention_bwd.py:200:26 ]
	v_exp_f32_e32 v0, v16
	v_exp_f32_e32 v1, v17
	scratch_store_b32 off, v0, off offset:1364 ; 4-byte Folded Spill
	.loc	1 61 21                         ; attention_bwd.py:61:21 @[ attention_bwd.py:200:26 ]
	v_cvt_f16_f32_e32 v0, v0
	ds_store_b16 v113, v0 offset:18432
	.loc	1 53 26                         ; attention_bwd.py:53:26 @[ attention_bwd.py:200:26 ]
	v_exp_f32_e32 v0, v10
	.loc	1 61 21                         ; attention_bwd.py:61:21 @[ attention_bwd.py:200:26 ]
	scratch_store_b32 off, v1, off offset:1368 ; 4-byte Folded Spill
	v_cvt_f16_f32_e32 v1, v1
	ds_store_b16 v113, v1 offset:18688
	.loc	1 53 26                         ; attention_bwd.py:53:26 @[ attention_bwd.py:200:26 ]
	v_exp_f32_e32 v1, v11
	.loc	1 61 21                         ; attention_bwd.py:61:21 @[ attention_bwd.py:200:26 ]
	scratch_store_b32 off, v0, off offset:1380 ; 4-byte Folded Spill
	;; [unrolled: 6-line block ×6, first 2 shown]
	v_cvt_f16_f32_e32 v0, v0
	scratch_store_b32 off, v1, off offset:1416 ; 4-byte Folded Spill
	v_cvt_f16_f32_e32 v1, v1
	ds_store_b16 v113, v0 offset:19968
	ds_store_b16 v113, v1 offset:20224
	scratch_load_b32 v0, off, off offset:1948 ; 4-byte Folded Reload
	.loc	1 58 21                         ; attention_bwd.py:58:21 @[ attention_bwd.py:200:26 ]
	ds_load_u16 v98, v115 offset:13312
	ds_load_u16 v33, v115 offset:8768
	;; [unrolled: 1-line block ×27, first 2 shown]
	.loc	1 69 26                         ; attention_bwd.py:69:26 @[ attention_bwd.py:200:26 ]
	s_waitcnt vmcnt(0)
	ds_load_b128 v[216:219], v0
	ds_load_b128 v[220:223], v0 offset:16
	ds_load_b128 v[1:4], v0 offset:32
	ds_load_b128 v[5:8], v0 offset:48
	s_waitcnt lgkmcnt(1)
	scratch_store_b128 off, v[1:4], off offset:1168 ; 16-byte Folded Spill
	s_waitcnt lgkmcnt(0)
	scratch_store_b128 off, v[5:8], off offset:1184 ; 16-byte Folded Spill
	ds_load_b128 v[248:251], v0 offset:2048
	ds_load_b128 v[252:255], v0 offset:2064
	ds_load_b128 v[1:4], v0 offset:2080
	ds_load_b128 v[5:8], v0 offset:2096
	s_waitcnt lgkmcnt(1)
	scratch_store_b128 off, v[1:4], off offset:1200 ; 16-byte Folded Spill
	s_waitcnt lgkmcnt(0)
	scratch_store_b128 off, v[5:8], off offset:1216 ; 16-byte Folded Spill
	ds_load_b128 v[240:243], v0 offset:4096
	;; [unrolled: 8-line block ×3, first 2 shown]
	ds_load_b128 v[5:8], v0 offset:6160
	s_waitcnt lgkmcnt(1)
	scratch_store_b128 off, v[1:4], off offset:1264 ; 16-byte Folded Spill
	s_waitcnt lgkmcnt(0)
	scratch_store_b128 off, v[5:8], off offset:1280 ; 16-byte Folded Spill
	ds_load_b128 v[1:4], v0 offset:6176
	ds_load_b128 v[5:8], v0 offset:6192
	s_waitcnt lgkmcnt(1)
	scratch_store_b128 off, v[1:4], off offset:1136 ; 16-byte Folded Spill
	s_waitcnt lgkmcnt(0)
	scratch_store_b128 off, v[5:8], off offset:1152 ; 16-byte Folded Spill
	.loc	1 58 21                         ; attention_bwd.py:58:21 @[ attention_bwd.py:200:26 ]
	ds_load_u16_d16_hi v23, v115 offset:16320
	ds_load_u16 v22, v115 offset:15552
	ds_load_u16 v8, v115 offset:8384
	s_waitcnt lgkmcnt(0)
	ds_load_u16_d16_hi v8, v115 offset:8640
	ds_load_u16_d16_hi v103, v115 offset:16128
	;; [unrolled: 1-line block ×3, first 2 shown]
	ds_load_u16 v21, v115 offset:15040
	ds_load_u16_d16_hi v102, v115 offset:15616
	s_waitcnt lgkmcnt(1)
	ds_load_u16_d16_hi v21, v115 offset:15296
	ds_load_u16 v20, v115 offset:14528
	ds_load_u16_d16_hi v101, v115 offset:15104
	ds_load_u16_d16_hi v233, v115 offset:8960
	ds_load_u16 v234, v115 offset:9216
	ds_load_u16 v42, v115 offset:9344
	s_waitcnt lgkmcnt(4)
	ds_load_u16_d16_hi v20, v115 offset:14784
	ds_load_u16 v19, v115 offset:14016
	ds_load_u16_d16_hi v100, v115 offset:14592
	s_waitcnt lgkmcnt(1)
	ds_load_u16_d16_hi v19, v115 offset:14272
	ds_load_u16 v18, v115 offset:13504
	ds_load_u16_d16_hi v99, v115 offset:14080
	;; [unrolled: 4-line block ×11, first 2 shown]
	ds_load_u16_d16_hi v40, v115 offset:8576
	ds_load_u16_d16_hi v33, v115 offset:9024
	;; [unrolled: 1-line block ×3, first 2 shown]
	s_waitcnt lgkmcnt(4)
	ds_load_u16_d16_hi v9, v115 offset:9152
	ds_load_u16_d16_hi v34, v115 offset:9536
	;; [unrolled: 1-line block ×29, first 2 shown]
	.loc	1 61 21                         ; attention_bwd.py:61:21 @[ attention_bwd.py:200:26 ]
	s_waitcnt lgkmcnt(0)
	s_waitcnt_vscnt null, 0x0
	s_barrier
	buffer_gl0_inv
	s_clause 0x1                            ; 32-byte Folded Reload
	scratch_load_b128 v[48:51], off, off offset:296
	scratch_load_b128 v[52:55], off, off offset:312
	ds_load_u16 v0, v118 offset:16384
	ds_load_u16 v1, v118 offset:16640
	;; [unrolled: 1-line block ×8, first 2 shown]
	s_waitcnt lgkmcnt(7)
	ds_load_u16_d16_hi v0, v118 offset:16512
	s_waitcnt lgkmcnt(7)
	ds_load_u16_d16_hi v1, v118 offset:16768
	;; [unrolled: 2-line block ×8, first 2 shown]
	.loc	1 62 26                         ; attention_bwd.py:62:26 @[ attention_bwd.py:200:26 ]
	s_waitcnt vmcnt(0) lgkmcnt(0)
	v_wmma_f32_16x16x16_f16 v[48:55], v[232:239], v[0:7], v[48:55]
	s_clause 0x2                            ; 36-byte Folded Reload
	scratch_load_b32 v56, off, off offset:1488
	scratch_load_b128 v[232:235], off, off offset:328
	scratch_load_b128 v[236:239], off, off offset:344
	s_waitcnt vmcnt(0)
	v_wmma_f32_16x16x16_f16 v[232:239], v[32:39], v[0:7], v[232:239]
	s_clause 0x5                            ; 48-byte Folded Reload
	scratch_load_b32 v35, off, off offset:936
	scratch_load_b32 v34, off, off offset:932
	;; [unrolled: 1-line block ×4, first 2 shown]
	scratch_load_b128 v[224:227], off, off offset:360
	scratch_load_b128 v[228:231], off, off offset:376
	s_waitcnt vmcnt(0)
	v_wmma_f32_16x16x16_f16 v[224:231], v[40:47], v[0:7], v[224:231]
	s_clause 0x1                            ; 32-byte Folded Reload
	scratch_load_b128 v[36:39], off, off offset:36
	scratch_load_b128 v[40:43], off, off offset:52
	s_waitcnt vmcnt(0)
	v_wmma_f32_16x16x16_f16 v[36:43], v[8:15], v[0:7], v[36:43]
	.loc	1 61 21                         ; attention_bwd.py:61:21 @[ attention_bwd.py:200:26 ]
	ds_load_u16 v0, v118 offset:18432
	ds_load_u16 v1, v118 offset:18688
	;; [unrolled: 1-line block ×8, first 2 shown]
	s_waitcnt lgkmcnt(7)
	ds_load_u16_d16_hi v0, v118 offset:18560
	s_waitcnt lgkmcnt(7)
	ds_load_u16_d16_hi v1, v118 offset:18816
	;; [unrolled: 2-line block ×8, first 2 shown]
	.loc	1 62 26                         ; attention_bwd.py:62:26 @[ attention_bwd.py:200:26 ]
	s_waitcnt lgkmcnt(0)
	v_wmma_f32_16x16x16_f16 v[48:55], v[96:103], v[0:7], v[48:55]
	s_clause 0x1                            ; 32-byte Folded Spill
	scratch_store_b128 off, v[48:51], off offset:296
	scratch_store_b128 off, v[52:55], off offset:312
	v_wmma_f32_16x16x16_f16 v[36:43], v[16:23], v[0:7], v[36:43]
	s_clause 0x3                            ; 64-byte Folded Reload
	scratch_load_b128 v[16:19], off, off offset:1456
	scratch_load_b128 v[20:23], off, off offset:1472
	;; [unrolled: 1-line block ×4, first 2 shown]
	v_dual_mov_b32 v103, v112 :: v_dual_mov_b32 v98, v77
	v_wmma_f32_16x16x16_f16 v[232:239], v[120:127], v[0:7], v[232:239]
	v_wmma_f32_16x16x16_f16 v[224:231], v[24:31], v[0:7], v[224:231]
	s_clause 0x3                            ; 64-byte Folded Spill
	scratch_store_b128 off, v[232:235], off offset:328
	scratch_store_b128 off, v[236:239], off offset:344
	;; [unrolled: 1-line block ×4, first 2 shown]
	v_dual_mov_b32 v28, v74 :: v_dual_mov_b32 v27, v73
	v_dual_mov_b32 v30, v76 :: v_dual_mov_b32 v29, v75
	s_clause 0x7                            ; 32-byte Folded Reload
	scratch_load_b32 v55, off, off offset:948
	scratch_load_b32 v54, off, off offset:944
	;; [unrolled: 1-line block ×5, first 2 shown]
	scratch_load_b32 v24, off, off
	scratch_load_b32 v77, off, off offset:648
	scratch_load_b32 v76, off, off offset:616
	.loc	1 66 24                         ; attention_bwd.py:66:24 @[ attention_bwd.py:200:26 ]
	s_waitcnt vmcnt(8)
	v_wmma_f32_16x16x16_f16 v[0:7], v[57:64], v[16:23], v[44:51]
	v_wmma_f32_16x16x16_f16 v[8:15], v[65:72], v[16:23], v[44:51]
	s_clause 0xd                            ; 80-byte Folded Reload
	scratch_load_b32 v96, off, off offset:1420
	scratch_load_b32 v63, off, off offset:960
	;; [unrolled: 1-line block ×9, first 2 shown]
	scratch_load_b128 v[16:19], off, off offset:1424
	scratch_load_b128 v[20:23], off, off offset:1440
	scratch_load_b32 v66, off, off offset:584
	scratch_load_b32 v65, off, off offset:552
	;; [unrolled: 1-line block ×3, first 2 shown]
	.loc	1 47 25                         ; attention_bwd.py:47:25 @[ attention_bwd.py:200:26 ]
	s_waitcnt vmcnt(5)
	v_add_co_u32 v62, vcc_lo, v62, s28
	.loc	1 66 24                         ; attention_bwd.py:66:24 @[ attention_bwd.py:200:26 ]
	s_waitcnt vmcnt(3)
	v_wmma_f32_16x16x16_f16 v[0:7], v[176:183], v[16:23], v[0:7]
	v_wmma_f32_16x16x16_f16 v[8:15], v[184:191], v[16:23], v[8:15]
	s_clause 0x3                            ; 64-byte Folded Reload
	scratch_load_b128 v[181:184], off, off offset:1560
	scratch_load_b128 v[185:188], off, off offset:1576
	;; [unrolled: 1-line block ×4, first 2 shown]
	.loc	1 47 25                         ; attention_bwd.py:47:25 @[ attention_bwd.py:200:26 ]
	v_add_co_ci_u32_e64 v117, null, s29, v117, vcc_lo
	v_add_co_u32 v29, vcc_lo, v29, s28
	s_delay_alu instid0(VALU_DEP_1) | instskip(SKIP_1) | instid1(VALU_DEP_1)
	v_add_co_ci_u32_e64 v30, null, s29, v30, vcc_lo
	v_add_co_u32 v27, vcc_lo, v27, s28
	v_add_co_ci_u32_e64 v28, null, s29, v28, vcc_lo
	.loc	1 66 24                         ; attention_bwd.py:66:24 @[ attention_bwd.py:200:26 ]
	s_waitcnt vmcnt(0)
	v_wmma_f32_16x16x16_f16 v[0:7], v[160:167], v[16:23], v[0:7]
	v_wmma_f32_16x16x16_f16 v[8:15], v[168:175], v[16:23], v[8:15]
	s_clause 0xa                            ; 92-byte Folded Reload
	scratch_load_b32 v171, off, off offset:1372
	scratch_load_b32 v170, off, off offset:1376
	;; [unrolled: 1-line block ×4, first 2 shown]
	scratch_load_b128 v[173:176], off, off offset:1528
	scratch_load_b128 v[177:180], off, off offset:1544
	scratch_load_b32 v172, off, off offset:1944
	scratch_load_b128 v[16:19], off, off offset:1688
	scratch_load_b128 v[20:23], off, off offset:1704
	scratch_load_b32 v167, off, off offset:1396
	scratch_load_b32 v166, off, off offset:1400
	s_waitcnt vmcnt(2)
	v_wmma_f32_16x16x16_f16 v[0:7], v[144:151], v[16:23], v[0:7]
	v_wmma_f32_16x16x16_f16 v[8:15], v[152:159], v[16:23], v[8:15]
	s_clause 0x3                            ; 64-byte Folded Reload
	scratch_load_b128 v[157:160], off, off offset:1496
	scratch_load_b128 v[161:164], off, off offset:1512
	;; [unrolled: 1-line block ×4, first 2 shown]
	s_waitcnt vmcnt(0)
	v_wmma_f32_16x16x16_f16 v[8:15], v[136:143], v[16:23], v[8:15]
	v_wmma_f32_16x16x16_f16 v[0:7], v[128:135], v[16:23], v[0:7]
	s_clause 0x5                            ; 96-byte Folded Reload
	scratch_load_b128 v[126:129], off, off offset:172
	scratch_load_b128 v[130:133], off, off offset:188
	;; [unrolled: 1-line block ×6, first 2 shown]
	v_wmma_f32_16x16x16_f16 v[8:15], v[88:95], v[181:188], v[8:15]
	v_wmma_f32_16x16x16_f16 v[0:7], v[80:87], v[181:188], v[0:7]
	s_clause 0x9                            ; 40-byte Folded Reload
	scratch_load_b32 v82, off, off offset:1324
	scratch_load_b32 v84, off, off offset:1312
	;; [unrolled: 1-line block ×10, first 2 shown]
	v_wmma_f32_16x16x16_f16 v[8:15], v[104:111], v[173:180], v[8:15]
	s_clause 0xd                            ; 56-byte Folded Reload
	scratch_load_b32 v111, off, off offset:760
	scratch_load_b32 v110, off, off offset:752
	;; [unrolled: 1-line block ×14, first 2 shown]
	v_wmma_f32_16x16x16_f16 v[0:7], v[192:199], v[173:180], v[0:7]
	v_wmma_f32_16x16x16_f16 v[8:15], v[200:207], v[157:164], v[8:15]
	s_delay_alu instid0(VALU_DEP_2) | instskip(SKIP_2) | instid1(VALU_DEP_2)
	v_wmma_f32_16x16x16_f16 v[0:7], v[208:215], v[157:164], v[0:7]
	v_mov_b32_e32 v72, v79
	.loc	1 67 26                         ; attention_bwd.py:67:26 @[ attention_bwd.py:200:26 ]
	s_waitcnt vmcnt(6)
	v_dual_sub_f32 v16, v0, v16 :: v_dual_sub_f32 v17, v1, v17
	s_waitcnt vmcnt(4)
	v_dual_sub_f32 v2, v2, v18 :: v_dual_sub_f32 v3, v3, v19
	;; [unrolled: 2-line block ×4, first 2 shown]
	s_clause 0x7                            ; 32-byte Folded Reload
	scratch_load_b32 v0, off, off offset:284
	scratch_load_b32 v1, off, off offset:280
	;; [unrolled: 1-line block ×8, first 2 shown]
	s_waitcnt vmcnt(7)
	v_sub_f32_e32 v8, v8, v0
	.loc	1 64 25                         ; attention_bwd.py:64:25 @[ attention_bwd.py:200:26 ]
	v_add_co_u32 v0, s49, s16, v78
	.loc	1 67 26                         ; attention_bwd.py:67:26 @[ attention_bwd.py:200:26 ]
	s_waitcnt vmcnt(6)
	v_sub_f32_e32 v9, v9, v1
	.loc	1 64 25                         ; attention_bwd.py:64:25 @[ attention_bwd.py:200:26 ]
	v_add_co_ci_u32_e64 v1, null, s17, 0, s49
	.loc	1 64 21 is_stmt 0               ; attention_bwd.py:64:21 @[ attention_bwd.py:200:26 ]
	s_clause 0xf
	global_load_b32 v153, v[0:1], off offset:128
	global_load_b32 v152, v[0:1], off offset:136
	;; [unrolled: 1-line block ×16, first 2 shown]
	.loc	1 68 21 is_stmt 1               ; attention_bwd.py:68:21 @[ attention_bwd.py:200:26 ]
	scratch_load_b32 v0, off, off offset:1336 ; 4-byte Folded Reload
	.loc	1 67 26                         ; attention_bwd.py:67:26 @[ attention_bwd.py:200:26 ]
	s_waitcnt vmcnt(19)
	v_dual_sub_f32 v10, v10, v18 :: v_dual_sub_f32 v13, v13, v21
	s_clause 0x1                            ; 8-byte Folded Reload
	scratch_load_b32 v18, off, off offset:880
	scratch_load_b32 v21, off, off offset:904
	v_sub_f32_e32 v11, v11, v19
	scratch_load_b32 v19, off, off offset:888 ; 4-byte Folded Reload
	s_waitcnt vmcnt(20)
	v_dual_sub_f32 v12, v12, v20 :: v_dual_sub_f32 v15, v15, v23
	s_clause 0x1                            ; 8-byte Folded Reload
	scratch_load_b32 v20, off, off offset:896
	scratch_load_b32 v23, off, off offset:920
	v_sub_f32_e32 v14, v14, v22
	scratch_load_b32 v22, off, off offset:912 ; 4-byte Folded Reload
	.loc	1 47 25                         ; attention_bwd.py:47:25 @[ attention_bwd.py:200:26 ]
	s_add_u32 s16, s16, 0x80
	s_addc_u32 s17, s17, 0
	s_add_i32 s15, s15, -1
	s_delay_alu instid0(SALU_CYCLE_1)
	s_cmp_lg_u32 s15, 0
	.loc	1 68 21                         ; attention_bwd.py:68:21 @[ attention_bwd.py:200:26 ]
	s_waitcnt vmcnt(6)
	v_fma_mixlo_f16 v0, v0, v16, 0
	s_clause 0x1                            ; 8-byte Folded Reload
	scratch_load_b32 v16, off, off offset:864
	scratch_load_b32 v1, off, off offset:1332
	s_waitcnt vmcnt(0)
	v_fma_mixlo_f16 v1, v1, v17, 0
	s_clause 0x1                            ; 8-byte Folded Reload
	scratch_load_b32 v17, off, off offset:872
	scratch_load_b32 v44, off, off offset:1340
	s_waitcnt vmcnt(0)
	v_fma_mixlo_f16 v2, v44, v2, 0
	scratch_load_b32 v44, off, off offset:1344 ; 4-byte Folded Reload
	s_waitcnt vmcnt(0)
	v_fma_mixlo_f16 v3, v44, v3, 0
	scratch_load_b32 v44, off, off offset:1348 ; 4-byte Folded Reload
	;; [unrolled: 3-line block ×13, first 2 shown]
	s_waitcnt vmcnt(0)
	v_fma_mixlo_f16 v15, v44, v15, 0
	s_waitcnt_vscnt null, 0x0
	s_barrier
	buffer_gl0_inv
	ds_store_b16 v113, v0 offset:16384
	ds_store_b16 v113, v1 offset:16640
	;; [unrolled: 1-line block ×9, first 2 shown]
	scratch_load_b32 v8, off, off offset:800 ; 4-byte Folded Reload
	ds_store_b16 v113, v9 offset:18688
	ds_store_b16 v113, v10 offset:18944
	;; [unrolled: 1-line block ×7, first 2 shown]
	s_clause 0x6                            ; 28-byte Folded Reload
	scratch_load_b32 v9, off, off offset:808
	scratch_load_b32 v10, off, off offset:816
	;; [unrolled: 1-line block ×7, first 2 shown]
	s_waitcnt vmcnt(0) lgkmcnt(0)
	s_barrier
	buffer_gl0_inv
	ds_load_u16 v0, v118 offset:16384
	ds_load_u16 v1, v118 offset:16640
	;; [unrolled: 1-line block ×8, first 2 shown]
	s_waitcnt lgkmcnt(7)
	ds_load_u16_d16_hi v0, v118 offset:16512
	s_waitcnt lgkmcnt(7)
	ds_load_u16_d16_hi v1, v118 offset:16768
	;; [unrolled: 2-line block ×8, first 2 shown]
	.loc	1 69 26                         ; attention_bwd.py:69:26 @[ attention_bwd.py:200:26 ]
	s_clause 0x1                            ; 32-byte Folded Reload
	scratch_load_b128 v[44:47], off, off offset:1264
	scratch_load_b128 v[48:51], off, off offset:1280
	s_waitcnt lgkmcnt(0)
	v_wmma_f32_16x16x16_f16 v[134:141], v[248:255], v[0:7], v[134:141]
	s_clause 0x1                            ; 32-byte Folded Reload
	scratch_load_b128 v[248:251], off, off offset:76
	scratch_load_b128 v[252:255], off, off offset:92
	v_wmma_f32_16x16x16_f16 v[126:133], v[216:223], v[0:7], v[126:133]
	v_wmma_f32_16x16x16_f16 v[142:149], v[240:247], v[0:7], v[142:149]
	s_waitcnt vmcnt(0)
	v_wmma_f32_16x16x16_f16 v[248:255], v[44:51], v[0:7], v[248:255]
	s_clause 0x1                            ; 32-byte Folded Reload
	scratch_load_b128 v[44:47], off, off offset:1168
	scratch_load_b128 v[48:51], off, off offset:1184
	.loc	1 68 21                         ; attention_bwd.py:68:21 @[ attention_bwd.py:200:26 ]
	ds_load_u16 v0, v118 offset:18432
	ds_load_u16 v1, v118 offset:18688
	;; [unrolled: 1-line block ×8, first 2 shown]
	s_waitcnt lgkmcnt(7)
	ds_load_u16_d16_hi v0, v118 offset:18560
	s_waitcnt lgkmcnt(7)
	ds_load_u16_d16_hi v1, v118 offset:18816
	;; [unrolled: 2-line block ×8, first 2 shown]
	.loc	1 69 26                         ; attention_bwd.py:69:26 @[ attention_bwd.py:200:26 ]
	s_waitcnt vmcnt(0) lgkmcnt(0)
	v_wmma_f32_16x16x16_f16 v[126:133], v[44:51], v[0:7], v[126:133]
	s_clause 0x1                            ; 32-byte Folded Reload
	scratch_load_b128 v[44:47], off, off offset:1200
	scratch_load_b128 v[48:51], off, off offset:1216
	s_waitcnt vmcnt(0)
	v_wmma_f32_16x16x16_f16 v[134:141], v[44:51], v[0:7], v[134:141]
	s_clause 0x1                            ; 32-byte Folded Reload
	scratch_load_b128 v[44:47], off, off offset:1232
	scratch_load_b128 v[48:51], off, off offset:1248
	s_waitcnt vmcnt(0)
	;; [unrolled: 5-line block ×3, first 2 shown]
	v_wmma_f32_16x16x16_f16 v[248:255], v[44:51], v[0:7], v[248:255]
	.loc	1 48 21                         ; attention_bwd.py:48:21 @[ attention_bwd.py:200:26 ]
	s_clause 0x6                            ; 28-byte Folded Reload
	scratch_load_b32 v1, off, off offset:4
	scratch_load_b32 v3, off, off offset:956
	;; [unrolled: 1-line block ×7, first 2 shown]
	s_waitcnt vmcnt(0)
	ds_store_b16 v56, v0
	scratch_load_b32 v0, off, off offset:992 ; 4-byte Folded Reload
	s_waitcnt vmcnt(0)
	ds_store_b16 v56, v0 offset:512
	scratch_load_b32 v0, off, off offset:996 ; 4-byte Folded Reload
	s_waitcnt vmcnt(0)
	ds_store_b16 v56, v0 offset:1024
	;; [unrolled: 3-line block ×11, first 2 shown]
	.loc	1 58 21                         ; attention_bwd.py:58:21 @[ attention_bwd.py:200:26 ]
	scratch_load_b32 v0, off, off offset:1076 ; 4-byte Folded Reload
	s_waitcnt vmcnt(0)
	ds_store_b16 v56, v0 offset:8192
	scratch_load_b32 v0, off, off offset:1084 ; 4-byte Folded Reload
	s_waitcnt vmcnt(0)
	ds_store_b16 v56, v0 offset:8704
	scratch_load_b32 v0, off, off offset:1088 ; 4-byte Folded Reload
	s_waitcnt vmcnt(0)
	ds_store_b16 v56, v0 offset:9216
	scratch_load_b32 v0, off, off offset:1092 ; 4-byte Folded Reload
	s_waitcnt vmcnt(0)
	ds_store_b16 v56, v0 offset:10240
	scratch_load_b32 v0, off, off offset:1096 ; 4-byte Folded Reload
	s_waitcnt vmcnt(0)
	ds_store_b16 v56, v0 offset:10752
	scratch_load_b32 v0, off, off offset:1100 ; 4-byte Folded Reload
	s_waitcnt vmcnt(0)
	ds_store_b16 v56, v0 offset:11264
	scratch_load_b32 v0, off, off offset:1108 ; 4-byte Folded Reload
	s_waitcnt vmcnt(0)
	ds_store_b16 v56, v0 offset:12288
	scratch_load_b32 v0, off, off offset:1112 ; 4-byte Folded Reload
	s_waitcnt vmcnt(0)
	ds_store_b16 v56, v0 offset:12800
	scratch_load_b32 v0, off, off offset:1116 ; 4-byte Folded Reload
	s_waitcnt vmcnt(0)
	ds_store_b16 v56, v0 offset:13312
	scratch_load_b32 v0, off, off offset:1124 ; 4-byte Folded Reload
	s_waitcnt vmcnt(0)
	ds_store_b16 v56, v0 offset:14336
	scratch_load_b32 v0, off, off offset:1128 ; 4-byte Folded Reload
	s_waitcnt vmcnt(0)
	ds_store_b16 v56, v0 offset:14848
	scratch_load_b32 v0, off, off offset:1132 ; 4-byte Folded Reload
	s_waitcnt vmcnt(0)
	ds_store_b16 v56, v0 offset:15360
	.loc	1 48 21                         ; attention_bwd.py:48:21 @[ attention_bwd.py:200:26 ]
	s_clause 0x2                            ; 12-byte Folded Reload
	scratch_load_b32 v56, off, off offset:964
	scratch_load_b32 v0, off, off offset:976
	;; [unrolled: 1-line block ×3, first 2 shown]
	s_waitcnt vmcnt(0)
	ds_store_b16 v2, v0
	scratch_load_b32 v0, off, off offset:980 ; 4-byte Folded Reload
	s_waitcnt vmcnt(0)
	ds_store_b16 v24, v0
	scratch_load_b32 v0, off, off offset:988 ; 4-byte Folded Reload
	;; [unrolled: 3-line block ×3, first 2 shown]
	s_waitcnt vmcnt(0)
	ds_store_b16 v26, v0
	.loc	1 58 21                         ; attention_bwd.py:58:21 @[ attention_bwd.py:200:26 ]
	scratch_load_b32 v0, off, off offset:1072 ; 4-byte Folded Reload
	s_waitcnt vmcnt(0)
	ds_store_b16 v2, v0 offset:8192
	s_clause 0x1                            ; 8-byte Folded Reload
	scratch_load_b32 v0, off, off offset:1080
	scratch_load_b32 v2, off, off offset:972
	s_waitcnt vmcnt(1)
	ds_store_b16 v24, v0 offset:8192
	s_clause 0x1                            ; 8-byte Folded Reload
	scratch_load_b32 v24, off, off offset:456
	scratch_load_b32 v0, off, off offset:1104
	;; [unrolled: 5-line block ×3, first 2 shown]
	.loc	1 47 25                         ; attention_bwd.py:47:25 @[ attention_bwd.py:200:26 ]
	s_waitcnt vmcnt(1)
	v_add_co_u32 v25, vcc_lo, v25, s28
	.loc	1 58 21                         ; attention_bwd.py:58:21 @[ attention_bwd.py:200:26 ]
	s_waitcnt vmcnt(0)
	ds_store_b16 v26, v0 offset:8192
	scratch_load_b32 v26, off, off offset:488 ; 4-byte Folded Reload
	.loc	1 47 25                         ; attention_bwd.py:47:25 @[ attention_bwd.py:200:26 ]
	s_waitcnt vmcnt(0)
	v_add_co_ci_u32_e64 v26, null, s29, v26, vcc_lo
	v_add_co_u32 v57, vcc_lo, v57, s28
	s_delay_alu instid0(VALU_DEP_1) | instskip(SKIP_1) | instid1(VALU_DEP_1)
	v_add_co_ci_u32_e64 v24, null, s29, v24, vcc_lo
	v_add_co_u32 v58, vcc_lo, v58, s28
	v_add_co_ci_u32_e64 v59, null, s29, v59, vcc_lo
	v_add_co_u32 v60, vcc_lo, v60, s28
	s_delay_alu instid0(VALU_DEP_1) | instskip(SKIP_1) | instid1(VALU_DEP_1)
	v_add_co_ci_u32_e64 v61, null, s29, v61, vcc_lo
	v_add_co_u32 v112, vcc_lo, v112, s28
	;; [unrolled: 5-line block ×14, first 2 shown]
	v_add_co_ci_u32_e64 v1, null, s29, v1, vcc_lo
	s_cbranch_scc1 .LBB0_68
; %bb.69:                               ; %Flow3528
	.loc	1 0 25 is_stmt 0                ; attention_bwd.py:0:25
	s_clause 0x7                            ; 128-byte Folded Spill
	scratch_store_b128 off, v[126:129], off offset:172
	scratch_store_b128 off, v[130:133], off offset:188
	scratch_store_b128 off, v[134:137], off offset:140
	scratch_store_b128 off, v[138:141], off offset:156
	scratch_store_b128 off, v[142:145], off offset:108
	scratch_store_b128 off, v[146:149], off offset:124
	scratch_store_b128 off, v[248:251], off offset:76
	scratch_store_b128 off, v[252:255], off offset:92
	s_clause 0x1b                           ; 308-byte Folded Reload
	scratch_load_b64 v[106:107], off, off offset:1956
	scratch_load_b64 v[108:109], off, off offset:1964
	;; [unrolled: 1-line block ×7, first 2 shown]
	scratch_load_b32 v69, off, off offset:2012
	scratch_load_b128 v[213:216], off, off offset:1424
	scratch_load_b128 v[217:220], off, off offset:1440
	;; [unrolled: 1-line block ×14, first 2 shown]
	scratch_load_b32 v165, off, off offset:2472
	scratch_load_b32 v78, off, off offset:2476
	scratch_load_b32 v79, off, off offset:2480
	scratch_load_b32 v80, off, off offset:2484
	scratch_load_b32 v33, off, off offset:2488
	scratch_load_b32 v34, off, off offset:2492
	v_dual_mov_b32 v126, v81 :: v_dual_mov_b32 v245, v82
	v_dual_mov_b32 v230, v96 :: v_dual_mov_b32 v231, v89
	;; [unrolled: 1-line block ×4, first 2 shown]
	v_mov_b32_e32 v234, v87
	s_branch .LBB0_71
.LBB0_70:
	v_dual_mov_b32 v42, v43 :: v_dual_mov_b32 v85, v237
	s_clause 0x3                            ; 64-byte Folded Reload
	scratch_load_b128 v[98:101], off, off offset:1624
	scratch_load_b128 v[102:105], off, off offset:1640
	;; [unrolled: 1-line block ×4, first 2 shown]
	v_mov_b32_e32 v41, v43
	v_mov_b32_e32 v40, v43
	;; [unrolled: 1-line block ×39, first 2 shown]
	s_clause 0x7                            ; 128-byte Folded Spill
	scratch_store_b128 off, v[0:3], off offset:76
	scratch_store_b128 off, v[4:7], off offset:92
	;; [unrolled: 1-line block ×8, first 2 shown]
.LBB0_71:                               ; %Flow3530
	s_load_b32 s0, s[0:1], 0x18
	s_waitcnt vmcnt(0)
	v_dual_mov_b32 v201, 0 :: v_dual_add_nc_u32 v0, 0, v34
	v_dual_mov_b32 v192, 0 :: v_dual_add_nc_u32 v117, 0, v80
	v_dual_mov_b32 v202, 0 :: v_dual_mov_b32 v205, 0
	s_delay_alu instid0(VALU_DEP_3)
	v_dual_mov_b32 v203, 0 :: v_dual_add_nc_u32 v116, v0, v33
	v_dual_mov_b32 v204, 0 :: v_dual_mov_b32 v207, 0
	v_dual_mov_b32 v206, 0 :: v_dual_mov_b32 v193, 0
	;; [unrolled: 1-line block ×5, first 2 shown]
	v_mov_b32_e32 v198, 0
	v_mov_b32_e32 v200, 0
	.loc	1 52 24 is_stmt 1               ; attention_bwd.py:52:24 @[ attention_bwd.py:200:26 ]
	s_and_b32 vcc_lo, exec_lo, s2
	.loc	1 69 26                         ; attention_bwd.py:69:26 @[ attention_bwd.py:200:26 ]
	s_mov_b32 s4, 0
	s_clause 0x1b                           ; 256-byte Folded Spill
	scratch_store_b128 off, v[36:39], off offset:36
	scratch_store_b128 off, v[40:43], off offset:52
	;; [unrolled: 1-line block ×12, first 2 shown]
	scratch_store_b32 off, v156, off offset:284
	scratch_store_b32 off, v155, off offset:280
	;; [unrolled: 1-line block ×16, first 2 shown]
	s_waitcnt lgkmcnt(0)
	s_waitcnt_vscnt null, 0x0
	s_barrier
	buffer_gl0_inv
	s_cbranch_vccnz .LBB0_73
; %bb.72:
	.loc	1 0 26 is_stmt 0                ; attention_bwd.py:0:26
	s_clause 0x1                            ; 32-byte Folded Reload
	scratch_load_b128 v[24:27], off, off offset:1912
	scratch_load_b128 v[28:31], off, off offset:1928
	.loc	1 48 21 is_stmt 1               ; attention_bwd.py:48:21 @[ attention_bwd.py:200:26 ]
	ds_load_u16 v35, v117 offset:1408
	ds_load_u16 v2, v117 offset:1312
	;; [unrolled: 1-line block ×15, first 2 shown]
	.loc	1 52 24                         ; attention_bwd.py:52:24 @[ attention_bwd.py:200:26 ]
	s_mov_b32 s11, s4
	s_mov_b32 s5, s4
	;; [unrolled: 1-line block ×7, first 2 shown]
	s_delay_alu instid0(SALU_CYCLE_1)
	v_dual_mov_b32 v200, s11 :: v_dual_mov_b32 v199, s10
	v_dual_mov_b32 v198, s9 :: v_dual_mov_b32 v197, s8
	;; [unrolled: 1-line block ×4, first 2 shown]
	.loc	1 48 21                         ; attention_bwd.py:48:21 @[ attention_bwd.py:200:26 ]
	s_waitcnt lgkmcnt(5)
	ds_load_u16_d16_hi v1, v117 offset:1248
	ds_load_u16 v68, v117 offset:2944
	s_clause 0x1                            ; 32-byte Folded Reload
	scratch_load_b128 v[70:73], off, off offset:1784
	scratch_load_b128 v[74:77], off, off offset:1800
	ds_load_u16_d16_hi v35, v117 offset:1472
	ds_load_u16_d16_hi v2, v117 offset:1376
	;; [unrolled: 1-line block ×6, first 2 shown]
	ds_load_u16 v21, v117 offset:672
	ds_load_u16 v14, v117 offset:768
	;; [unrolled: 1-line block ×4, first 2 shown]
	ds_load_u16_d16_hi v19, v117 offset:480
	ds_load_u16 v9, v117 offset:128
	ds_load_u16 v16, v117 offset:32
	;; [unrolled: 1-line block ×5, first 2 shown]
	ds_load_u16_d16_hi v13, v117 offset:704
	ds_load_u16 v10, v117 offset:256
	ds_load_u16 v8, v117
	ds_load_u16 v17, v117 offset:160
	ds_load_u16 v5, v117 offset:1696
	s_waitcnt lgkmcnt(26)
	ds_load_u16_d16_hi v37, v117 offset:1728
	ds_load_u16_d16_hi v4, v117 offset:1632
	ds_load_u16 v0, v117 offset:1056
	ds_load_u16 v32, v117 offset:1024
	s_waitcnt lgkmcnt(27)
	ds_load_u16_d16_hi v11, v117 offset:448
	ds_load_u16 v34, v117 offset:1280
	ds_load_u16 v33, v117 offset:1152
	;; [unrolled: 1-line block ×6, first 2 shown]
	s_waitcnt lgkmcnt(24)
	ds_load_u16_d16_hi v14, v117 offset:832
	ds_load_u16_d16_hi v21, v117 offset:736
	s_waitcnt lgkmcnt(25)
	ds_load_u16_d16_hi v20, v117 offset:608
	s_waitcnt lgkmcnt(23)
	;; [unrolled: 2-line block ×6, first 2 shown]
	ds_load_u16_d16_hi v15, v117 offset:960
	ds_load_u16_d16_hi v18, v117 offset:352
	s_waitcnt lgkmcnt(23)
	ds_load_u16_d16_hi v10, v117 offset:320
	s_waitcnt lgkmcnt(23)
	;; [unrolled: 2-line block ×3, first 2 shown]
	ds_load_u16_d16_hi v17, v117 offset:224
	ds_load_u16_d16_hi v39, v117 offset:1984
	;; [unrolled: 1-line block ×3, first 2 shown]
	s_waitcnt lgkmcnt(25)
	ds_load_u16_d16_hi v5, v117 offset:1760
	ds_load_u16_d16_hi v38, v117 offset:1856
	s_waitcnt lgkmcnt(23)
	ds_load_u16_d16_hi v32, v117 offset:1088
	s_waitcnt lgkmcnt(22)
	;; [unrolled: 2-line block ×3, first 2 shown]
	ds_load_u16_d16_hi v33, v117 offset:1216
	ds_load_u16_d16_hi v0, v117 offset:1120
	.loc	1 52 24                         ; attention_bwd.py:52:24 @[ attention_bwd.py:200:26 ]
	s_waitcnt vmcnt(2) lgkmcnt(9)
	v_wmma_f32_16x16x16_f16 v[201:208], v[8:15], v[24:31], v[193:200]
	s_clause 0x1                            ; 32-byte Folded Reload
	scratch_load_b128 v[8:11], off, off offset:1880
	scratch_load_b128 v[12:15], off, off offset:1896
	s_waitcnt lgkmcnt(8)
	v_wmma_f32_16x16x16_f16 v[193:200], v[16:23], v[24:31], v[193:200]
	s_waitcnt vmcnt(0) lgkmcnt(1)
	v_wmma_f32_16x16x16_f16 v[201:208], v[32:39], v[8:15], v[201:208]
	s_waitcnt lgkmcnt(0)
	s_delay_alu instid0(VALU_DEP_2)
	v_wmma_f32_16x16x16_f16 v[193:200], v[0:7], v[8:15], v[193:200]
	s_clause 0x3                            ; 64-byte Folded Reload
	scratch_load_b128 v[9:12], off, off offset:1848
	scratch_load_b128 v[13:16], off, off offset:1864
	;; [unrolled: 1-line block ×4, first 2 shown]
	.loc	1 48 21                         ; attention_bwd.py:48:21 @[ attention_bwd.py:200:26 ]
	ds_load_u16 v3, v117 offset:3488
	ds_load_u16_d16_hi v40, v117 offset:4544
	ds_load_u16 v49, v117 offset:3584
	ds_load_u16 v44, v117 offset:4992
	ds_load_u16 v43, v117 offset:4864
	ds_load_u16_d16_hi v41, v117 offset:4672
	ds_load_u16 v5, v117 offset:3744
	ds_load_u16 v45, v117 offset:3072
	ds_load_u16 v60, v117 offset:2976
	ds_load_u16_d16_hi v42, v117 offset:4800
	ds_load_u16 v0, v117 offset:3104
	ds_load_u16 v46, v117 offset:3200
	ds_load_u16 v52, v117 offset:3968
	ds_load_u16 v51, v117 offset:3840
	;; [unrolled: 1-line block ×5, first 2 shown]
	ds_load_u16_d16_hi v68, v117 offset:3008
	ds_load_u16_d16_hi v59, v117 offset:2912
	ds_load_u16 v8, v117 offset:7552
	ds_load_u16 v36, v117 offset:7040
	;; [unrolled: 1-line block ×4, first 2 shown]
	s_waitcnt lgkmcnt(22)
	ds_load_u16_d16_hi v3, v117 offset:3552
	ds_load_u16 v63, v117 offset:2304
	ds_load_u16 v65, v117 offset:2560
	;; [unrolled: 1-line block ×5, first 2 shown]
	s_waitcnt lgkmcnt(26)
	ds_load_u16_d16_hi v49, v117 offset:3648
	ds_load_u16 v48, v117 offset:3456
	ds_load_u16 v47, v117 offset:3328
	s_waitcnt lgkmcnt(24)
	ds_load_u16_d16_hi v45, v117 offset:3136
	s_waitcnt lgkmcnt(24)
	ds_load_u16_d16_hi v60, v117 offset:3040
	ds_load_u16_d16_hi v5, v117 offset:3808
	ds_load_u16 v57, v117 offset:2592
	ds_load_u16 v67, v117 offset:2816
	;; [unrolled: 1-line block ×9, first 2 shown]
	s_waitcnt lgkmcnt(19)
	ds_load_u16_d16_hi v63, v117 offset:2368
	s_waitcnt lgkmcnt(19)
	ds_load_u16_d16_hi v65, v117 offset:2624
	s_waitcnt lgkmcnt(19)
	ds_load_u16_d16_hi v56, v117 offset:2528
	s_waitcnt lgkmcnt(19)
	ds_load_u16_d16_hi v61, v117 offset:2112
	s_waitcnt lgkmcnt(19)
	ds_load_u16_d16_hi v54, v117 offset:2272
	ds_load_u16 v7, v117 offset:4000
	ds_load_u16 v6, v117 offset:3872
	;; [unrolled: 1-line block ×5, first 2 shown]
	ds_load_u16_d16_hi v58, v117 offset:2784
	s_waitcnt lgkmcnt(19)
	ds_load_u16_d16_hi v57, v117 offset:2656
	s_waitcnt lgkmcnt(19)
	;; [unrolled: 2-line block ×7, first 2 shown]
	ds_load_u16_d16_hi v55, v117 offset:2400
	ds_load_u16_d16_hi v46, v117 offset:3264
	;; [unrolled: 1-line block ×6, first 2 shown]
	s_waitcnt lgkmcnt(24)
	ds_load_u16_d16_hi v50, v117 offset:3776
	ds_load_u16_d16_hi v52, v117 offset:4032
	;; [unrolled: 1-line block ×3, first 2 shown]
	s_waitcnt lgkmcnt(20)
	ds_load_u16_d16_hi v7, v117 offset:4064
	s_waitcnt lgkmcnt(20)
	ds_load_u16_d16_hi v6, v117 offset:3936
	ds_load_u16_d16_hi v2, v117 offset:3424
	;; [unrolled: 1-line block ×5, first 2 shown]
	s_waitcnt lgkmcnt(24)
	ds_load_u16_d16_hi v37, v117 offset:4160
	s_waitcnt lgkmcnt(24)
	ds_load_u16_d16_hi v39, v117 offset:4416
	;; [unrolled: 2-line block ×3, first 2 shown]
	.loc	1 52 24                         ; attention_bwd.py:52:24 @[ attention_bwd.py:200:26 ]
	s_waitcnt vmcnt(2) lgkmcnt(19)
	v_wmma_f32_16x16x16_f16 v[201:208], v[61:68], v[9:16], v[201:208]
	s_waitcnt lgkmcnt(17)
	v_wmma_f32_16x16x16_f16 v[193:200], v[53:60], v[9:16], v[193:200]
	.loc	1 48 21                         ; attention_bwd.py:48:21 @[ attention_bwd.py:200:26 ]
	ds_load_u16 v15, v117 offset:7456
	ds_load_u16 v20, v117 offset:8096
	;; [unrolled: 1-line block ×7, first 2 shown]
	.loc	1 52 24                         ; attention_bwd.py:52:24 @[ attention_bwd.py:200:26 ]
	s_waitcnt vmcnt(0) lgkmcnt(16)
	v_wmma_f32_16x16x16_f16 v[201:208], v[45:52], v[27:34], v[201:208]
	.loc	1 48 21                         ; attention_bwd.py:48:21 @[ attention_bwd.py:200:26 ]
	ds_load_u16 v46, v117 offset:5920
	ds_load_u16 v55, v117 offset:6016
	;; [unrolled: 1-line block ×4, first 2 shown]
	.loc	1 52 24                         ; attention_bwd.py:52:24 @[ attention_bwd.py:200:26 ]
	s_waitcnt lgkmcnt(16)
	v_wmma_f32_16x16x16_f16 v[193:200], v[0:7], v[27:34], v[193:200]
	s_waitcnt lgkmcnt(11)
	v_wmma_f32_16x16x16_f16 v[201:208], v[37:44], v[70:77], v[201:208]
	.loc	1 48 21                         ; attention_bwd.py:48:21 @[ attention_bwd.py:200:26 ]
	ds_load_u16 v59, v117 offset:4512
	ds_load_u16 v58, v117 offset:4384
	ds_load_u16_d16_hi v8, v117 offset:7616
	s_waitcnt lgkmcnt(13)
	ds_load_u16_d16_hi v15, v117 offset:7520
	ds_load_u16 v17, v117 offset:7712
	s_waitcnt lgkmcnt(14)
	ds_load_u16_d16_hi v20, v117 offset:8160
	ds_load_u16 v12, v117 offset:8064
	ds_load_u16 v11, v117 offset:7936
	;; [unrolled: 1-line block ×3, first 2 shown]
	s_waitcnt lgkmcnt(14)
	ds_load_u16_d16_hi v9, v117 offset:7744
	ds_load_u16_d16_hi v16, v117 offset:7648
	ds_load_u16 v24, v117 offset:6560
	ds_load_u16 v33, v117 offset:6656
	;; [unrolled: 1-line block ×5, first 2 shown]
	s_waitcnt lgkmcnt(18)
	ds_load_u16_d16_hi v55, v117 offset:6080
	ds_load_u16_d16_hi v46, v117 offset:5984
	ds_load_u16 v21, v117 offset:6176
	ds_load_u16 v30, v117 offset:6272
	;; [unrolled: 1-line block ×7, first 2 shown]
	s_waitcnt lgkmcnt(25)
	ds_load_u16_d16_hi v50, v117 offset:5440
	ds_load_u16 v63, v117 offset:5024
	ds_load_u16 v48, v117 offset:5120
	;; [unrolled: 1-line block ×3, first 2 shown]
	s_waitcnt lgkmcnt(20)
	ds_load_u16_d16_hi v10, v117 offset:7872
	ds_load_u16_d16_hi v17, v117 offset:7776
	s_waitcnt lgkmcnt(19)
	ds_load_u16_d16_hi v24, v117 offset:6624
	s_waitcnt lgkmcnt(19)
	ds_load_u16_d16_hi v33, v117 offset:6720
	ds_load_u16 v32, v117 offset:6528
	ds_load_u16 v31, v117 offset:6400
	;; [unrolled: 1-line block ×3, first 2 shown]
	s_waitcnt lgkmcnt(20)
	ds_load_u16_d16_hi v29, v117 offset:6208
	ds_load_u16_d16_hi v47, v117 offset:6112
	ds_load_u16 v60, v117 offset:4640
	ds_load_u16_d16_hi v26, v117 offset:6880
	ds_load_u16 v34, v117 offset:6784
	ds_load_u16 v22, v117 offset:6304
	s_waitcnt lgkmcnt(22)
	ds_load_u16_d16_hi v30, v117 offset:6336
	ds_load_u16_d16_hi v21, v117 offset:6240
	ds_load_u16 v44, v117 offset:5664
	s_waitcnt lgkmcnt(21)
	ds_load_u16_d16_hi v52, v117 offset:5696
	ds_load_u16_d16_hi v43, v117 offset:5600
	ds_load_u16 v40, v117 offset:5152
	ds_load_u16 v62, v117 offset:4896
	ds_load_u16 v57, v117 offset:4256
	ds_load_u16_d16_hi v58, v117 offset:4448
	s_waitcnt lgkmcnt(24)
	ds_load_u16_d16_hi v63, v117 offset:5088
	s_waitcnt lgkmcnt(24)
	ds_load_u16_d16_hi v48, v117 offset:5184
	ds_load_u16_d16_hi v59, v117 offset:4576
	ds_load_u16 v28, v117 offset:7072
	s_waitcnt lgkmcnt(19)
	ds_load_u16_d16_hi v41, v117 offset:5344
	ds_load_u16 v49, v117 offset:5248
	ds_load_u16 v61, v117 offset:4768
	s_waitcnt lgkmcnt(19)
	ds_load_u16_d16_hi v60, v117 offset:4704
	ds_load_u16 v27, v117 offset:6944
	ds_load_u16 v5, v117 offset:7168
	;; [unrolled: 1-line block ×3, first 2 shown]
	ds_load_u16_d16_hi v19, v117 offset:8032
	ds_load_u16_d16_hi v18, v117 offset:7904
	;; [unrolled: 1-line block ×3, first 2 shown]
	ds_load_u16 v51, v117 offset:5504
	ds_load_u16_d16_hi v11, v117 offset:8000
	ds_load_u16_d16_hi v32, v117 offset:6592
	ds_load_u16 v7, v117 offset:7424
	ds_load_u16 v6, v117 offset:7296
	ds_load_u16_d16_hi v25, v117 offset:6752
	ds_load_u16_d16_hi v35, v117 offset:6976
	s_waitcnt lgkmcnt(31)
	ds_load_u16_d16_hi v34, v117 offset:6848
	ds_load_u16 v13, v117 offset:7200
	s_waitcnt lgkmcnt(19)
	ds_load_u16_d16_hi v28, v117 offset:7136
	ds_load_u16_d16_hi v45, v117 offset:5856
	;; [unrolled: 1-line block ×5, first 2 shown]
	s_waitcnt lgkmcnt(21)
	ds_load_u16_d16_hi v61, v117 offset:4832
	ds_load_u16_d16_hi v57, v117 offset:4320
	s_waitcnt lgkmcnt(19)
	ds_load_u16_d16_hi v56, v117 offset:4192
	ds_load_u16_d16_hi v53, v117 offset:5824
	;; [unrolled: 1-line block ×4, first 2 shown]
	s_waitcnt lgkmcnt(19)
	ds_load_u16_d16_hi v51, v117 offset:5568
	ds_load_u16_d16_hi v42, v117 offset:5472
	;; [unrolled: 1-line block ×9, first 2 shown]
	s_waitcnt lgkmcnt(25)
	ds_load_u16_d16_hi v7, v117 offset:7488
	s_waitcnt lgkmcnt(25)
	ds_load_u16_d16_hi v6, v117 offset:7360
	;; [unrolled: 2-line block ×3, first 2 shown]
	.loc	1 52 24                         ; attention_bwd.py:52:24 @[ attention_bwd.py:200:26 ]
	s_waitcnt lgkmcnt(15)
	v_wmma_f32_16x16x16_f16 v[193:200], v[56:63], v[70:77], v[193:200]
	s_clause 0x1                            ; 32-byte Folded Reload
	scratch_load_b128 v[56:59], off, off offset:1752
	scratch_load_b128 v[60:63], off, off offset:1768
	s_waitcnt vmcnt(0) lgkmcnt(11)
	v_wmma_f32_16x16x16_f16 v[201:208], v[48:55], v[56:63], v[201:208]
	s_waitcnt lgkmcnt(10)
	v_wmma_f32_16x16x16_f16 v[193:200], v[40:47], v[56:63], v[193:200]
	s_waitcnt lgkmcnt(6)
	s_delay_alu instid0(VALU_DEP_2) | instskip(SKIP_1) | instid1(VALU_DEP_2)
	v_wmma_f32_16x16x16_f16 v[201:208], v[29:36], v[237:244], v[201:208]
	s_waitcnt lgkmcnt(5)
	v_wmma_f32_16x16x16_f16 v[193:200], v[21:28], v[237:244], v[193:200]
	s_waitcnt lgkmcnt(1)
	s_delay_alu instid0(VALU_DEP_2) | instskip(SKIP_1) | instid1(VALU_DEP_2)
	v_wmma_f32_16x16x16_f16 v[201:208], v[5:12], v[98:105], v[201:208]
	s_waitcnt lgkmcnt(0)
	v_wmma_f32_16x16x16_f16 v[193:200], v[13:20], v[98:105], v[193:200]
.LBB0_73:
	.loc	1 0 24 is_stmt 0                ; attention_bwd.py:0:24
	s_delay_alu instid0(VALU_DEP_1) | instskip(NEXT) | instid1(VALU_DEP_3)
	.loc	1 53 32 is_stmt 1               ; attention_bwd.py:53:32 @[ attention_bwd.py:200:26 ]
	v_dual_sub_f32 v19, v196, v170 :: v_dual_add_nc_u32 v20, 0, v172
	v_dual_sub_f32 v8, v201, v85 :: v_dual_sub_f32 v9, v202, v234
	v_dual_sub_f32 v10, v203, v232 :: v_dual_sub_f32 v11, v204, v229
	v_dual_sub_f32 v12, v205, v247 :: v_dual_sub_f32 v13, v206, v246
	v_dual_sub_f32 v14, v207, v245 :: v_dual_sub_f32 v15, v208, v231
	v_dual_sub_f32 v24, v200, v166 :: v_dual_add_nc_u32 v105, v117, v69
	.loc	1 66 24                         ; attention_bwd.py:66:24 @[ attention_bwd.py:200:26 ]
	ds_load_b128 v[32:35], v20 offset:8192
	ds_load_b128 v[36:39], v20 offset:8208
	;; [unrolled: 1-line block ×10, first 2 shown]
	.loc	1 53 32                         ; attention_bwd.py:53:32 @[ attention_bwd.py:200:26 ]
	v_dual_sub_f32 v16, v193, v230 :: v_dual_sub_f32 v23, v199, v167
	v_dual_sub_f32 v17, v194, v126 :: v_dual_sub_f32 v18, v195, v171
	;; [unrolled: 1-line block ×3, first 2 shown]
	.loc	1 61 21                         ; attention_bwd.py:61:21 @[ attention_bwd.py:200:26 ]
	v_lshl_add_u32 v25, v165, 3, v79
	.loc	1 53 26                         ; attention_bwd.py:53:26 @[ attention_bwd.py:200:26 ]
	v_exp_f32_e32 v8, v8
	v_exp_f32_e32 v9, v9
	;; [unrolled: 1-line block ×4, first 2 shown]
	v_dual_mov_b32 v235, v131 :: v_dual_add_nc_u32 v118, v25, v80
	s_waitcnt lgkmcnt(1)
	scratch_store_b128 off, v[0:3], off offset:648 ; 16-byte Folded Spill
	s_waitcnt lgkmcnt(0)
	scratch_store_b128 off, v[4:7], off offset:664 ; 16-byte Folded Spill
	.loc	1 66 24                         ; attention_bwd.py:66:24 @[ attention_bwd.py:200:26 ]
	ds_load_b128 v[0:3], v20 offset:8352
	ds_load_b128 v[4:7], v20 offset:8368
	.loc	1 53 26                         ; attention_bwd.py:53:26 @[ attention_bwd.py:200:26 ]
	v_exp_f32_e32 v12, v12
	.loc	1 61 21                         ; attention_bwd.py:61:21 @[ attention_bwd.py:200:26 ]
	v_cvt_f16_f32_e32 v25, v9
	.loc	1 53 26                         ; attention_bwd.py:53:26 @[ attention_bwd.py:200:26 ]
	v_exp_f32_e32 v13, v13
	v_exp_f32_e32 v14, v14
	;; [unrolled: 1-line block ×7, first 2 shown]
	v_dual_mov_b32 v238, v134 :: v_dual_add_nc_u32 v209, v117, v78
	v_mov_b32_e32 v232, v128
	s_waitcnt lgkmcnt(1)
	scratch_store_b128 off, v[0:3], off offset:616 ; 16-byte Folded Spill
	s_waitcnt lgkmcnt(0)
	scratch_store_b128 off, v[4:7], off offset:632 ; 16-byte Folded Spill
	.loc	1 66 24                         ; attention_bwd.py:66:24 @[ attention_bwd.py:200:26 ]
	ds_load_b128 v[0:3], v20 offset:8384
	ds_load_b128 v[4:7], v20 offset:8400
	v_dual_mov_b32 v233, v129 :: v_dual_mov_b32 v234, v130
	v_dual_mov_b32 v236, v132 :: v_dual_mov_b32 v237, v133
	;; [unrolled: 1-line block ×4, first 2 shown]
	v_mov_b32_e32 v126, v143
	v_dual_mov_b32 v242, v138 :: v_dual_mov_b32 v243, v139
	v_dual_mov_b32 v244, v140 :: v_dual_mov_b32 v245, v141
	s_waitcnt lgkmcnt(1)
	scratch_store_b128 off, v[0:3], off offset:520 ; 16-byte Folded Spill
	s_waitcnt lgkmcnt(0)
	scratch_store_b128 off, v[4:7], off offset:536 ; 16-byte Folded Spill
	ds_load_b128 v[0:3], v20 offset:8416
	ds_load_b128 v[4:7], v20 offset:8432
	v_dual_mov_b32 v120, v137 :: v_dual_mov_b32 v121, v138
	v_dual_mov_b32 v122, v139 :: v_dual_mov_b32 v123, v140
	;; [unrolled: 1-line block ×3, first 2 shown]
	v_mov_b32_e32 v247, v143
	v_dual_mov_b32 v193, 0 :: v_dual_mov_b32 v194, 0
	v_dual_mov_b32 v195, 0 :: v_dual_mov_b32 v196, 0
	;; [unrolled: 1-line block ×3, first 2 shown]
	s_waitcnt lgkmcnt(1)
	scratch_store_b128 off, v[0:3], off offset:552 ; 16-byte Folded Spill
	s_waitcnt lgkmcnt(0)
	scratch_store_b128 off, v[4:7], off offset:568 ; 16-byte Folded Spill
	ds_load_b128 v[224:227], v20 offset:12288
	ds_load_b128 v[228:231], v20 offset:12304
	;; [unrolled: 1-line block ×16, first 2 shown]
	.loc	1 61 21                         ; attention_bwd.py:61:21 @[ attention_bwd.py:200:26 ]
	v_cvt_f16_f32_e32 v20, v8
	v_dual_mov_b32 v199, 0 :: v_dual_mov_b32 v136, 0
	v_dual_mov_b32 v139, 0 :: v_dual_mov_b32 v140, 0
	;; [unrolled: 1-line block ×3, first 2 shown]
	v_mov_b32_e32 v143, 0
	.loc	1 66 24                         ; attention_bwd.py:66:24 @[ attention_bwd.py:200:26 ]
	s_and_b32 vcc_lo, exec_lo, s2
	s_waitcnt lgkmcnt(1)
	scratch_store_b128 off, v[40:43], off offset:584 ; 16-byte Folded Spill
	s_waitcnt lgkmcnt(0)
	scratch_store_b128 off, v[44:47], off offset:600 ; 16-byte Folded Spill
	.loc	1 0 0 is_stmt 0                 ; attention_bwd.py:0 @[ attention_bwd.py:200:26 ]
	ds_load_b128 v[40:43], v116
	ds_load_b128 v[44:47], v116 offset:16
	s_waitcnt lgkmcnt(1)
	scratch_store_b128 off, v[40:43], off offset:488 ; 16-byte Folded Spill
	s_waitcnt lgkmcnt(0)
	scratch_store_b128 off, v[44:47], off offset:504 ; 16-byte Folded Spill
	ds_load_b128 v[40:43], v116 offset:32
	ds_load_b128 v[44:47], v116 offset:48
	s_waitcnt lgkmcnt(1)
	scratch_store_b128 off, v[40:43], off offset:4 ; 16-byte Folded Spill
	s_waitcnt lgkmcnt(0)
	scratch_store_b128 off, v[44:47], off offset:20 ; 16-byte Folded Spill
	ds_load_b128 v[40:43], v116 offset:2048
	;; [unrolled: 6-line block ×7, first 2 shown]
	ds_load_b128 v[44:47], v116 offset:6192
	.loc	1 61 21 is_stmt 1               ; attention_bwd.py:61:21 @[ attention_bwd.py:200:26 ]
	ds_store_b16 v118, v20 offset:16384
	v_cvt_f16_f32_e32 v20, v10
	ds_store_b16 v118, v25 offset:16640
	v_cvt_f16_f32_e32 v25, v11
	s_waitcnt lgkmcnt(3)
	scratch_store_b128 off, v[40:43], off offset:296 ; 16-byte Folded Spill
	s_waitcnt lgkmcnt(2)
	scratch_store_b128 off, v[44:47], off offset:312 ; 16-byte Folded Spill
	ds_store_b16 v118, v20 offset:16896
	v_cvt_f16_f32_e32 v20, v12
	ds_store_b16 v118, v25 offset:17152
	v_cvt_f16_f32_e32 v25, v13
	v_mov_b32_e32 v241, v137
	v_dual_mov_b32 v137, 0 :: v_dual_mov_b32 v138, 0
	ds_store_b16 v118, v20 offset:17408
	ds_store_b16 v118, v25 offset:17664
	v_cvt_f16_f32_e32 v20, v14
	v_cvt_f16_f32_e32 v25, v15
	ds_store_b16 v118, v20 offset:17920
	ds_store_b16 v118, v25 offset:18176
	v_cvt_f16_f32_e32 v20, v16
	v_cvt_f16_f32_e32 v25, v17
	ds_store_b16 v118, v20 offset:18432
	v_cvt_f16_f32_e32 v20, v18
	ds_store_b16 v118, v25 offset:18688
	;; [unrolled: 2-line block ×3, first 2 shown]
	.loc	1 53 26                         ; attention_bwd.py:53:26 @[ attention_bwd.py:200:26 ]
	v_exp_f32_e32 v20, v21
	v_exp_f32_e32 v21, v22
	;; [unrolled: 1-line block ×4, first 2 shown]
	.loc	1 61 21                         ; attention_bwd.py:61:21 @[ attention_bwd.py:200:26 ]
	v_cvt_f16_f32_e32 v26, v20
	ds_store_b16 v118, v25 offset:19200
	v_cvt_f16_f32_e32 v25, v21
	v_cvt_f16_f32_e32 v24, v23
	ds_store_b16 v118, v26 offset:19456
	v_cvt_f16_f32_e32 v26, v22
	ds_store_b16 v118, v26 offset:19968
	ds_store_b16 v118, v24 offset:20224
	.loc	1 58 21                         ; attention_bwd.py:58:21 @[ attention_bwd.py:200:26 ]
	ds_load_u16 v29, v105 offset:8192
	ds_load_u16 v30, v105 offset:8448
	;; [unrolled: 1-line block ×7, first 2 shown]
	.loc	1 61 21                         ; attention_bwd.py:61:21 @[ attention_bwd.py:200:26 ]
	ds_store_b16 v118, v25 offset:19712
	.loc	1 58 21                         ; attention_bwd.py:58:21 @[ attention_bwd.py:200:26 ]
	s_waitcnt lgkmcnt(1)
	scratch_store_b32 off, v24, off offset:996 ; 4-byte Folded Spill
	ds_load_u16 v24, v105 offset:8384
	s_waitcnt lgkmcnt(0)
	scratch_store_b32 off, v24, off offset:1000 ; 4-byte Folded Spill
	ds_load_u16 v45, v105 offset:8704
	ds_load_u16 v46, v105 offset:8960
	;; [unrolled: 1-line block ×57, first 2 shown]
	s_waitcnt lgkmcnt(0)
	scratch_store_b32 off, v27, off offset:944 ; 4-byte Folded Spill
	ds_load_u16 v27, v105 offset:12544
	s_waitcnt lgkmcnt(0)
	scratch_store_b32 off, v27, off offset:952 ; 4-byte Folded Spill
	ds_load_u16 v27, v105 offset:12352
	;; [unrolled: 3-line block ×25, first 2 shown]
	ds_load_u16 v27, v105 offset:13888
	s_waitcnt lgkmcnt(0)
	scratch_store_b32 off, v27, off offset:960 ; 4-byte Folded Spill
	ds_load_u16 v27, v105 offset:14144
	s_waitcnt lgkmcnt(0)
	scratch_store_b32 off, v27, off offset:964 ; 4-byte Folded Spill
	ds_load_u16 v27, v105 offset:13952
	s_waitcnt lgkmcnt(0)
	scratch_store_b32 off, v27, off offset:808 ; 4-byte Folded Spill
	ds_load_u16 v27, v105 offset:14208
	s_waitcnt lgkmcnt(0)
	scratch_store_b32 off, v27, off offset:816 ; 4-byte Folded Spill
	ds_load_u16 v27, v105 offset:14272
	s_waitcnt lgkmcnt(0)
	scratch_store_b32 off, v27, off offset:760 ; 4-byte Folded Spill
	ds_load_u16 v27, v105 offset:14016
	s_waitcnt lgkmcnt(0)
	scratch_store_b32 off, v27, off offset:768 ; 4-byte Folded Spill
	ds_load_u16 v92, v105 offset:14336
	ds_load_u16 v93, v105 offset:14592
	;; [unrolled: 1-line block ×3, first 2 shown]
	s_waitcnt lgkmcnt(0)
	scratch_store_b32 off, v27, off offset:976 ; 4-byte Folded Spill
	ds_load_u16 v127, v105 offset:14656
	ds_load_u16 v27, v105 offset:14464
	s_waitcnt lgkmcnt(0)
	scratch_store_b32 off, v27, off offset:840 ; 4-byte Folded Spill
	ds_load_u16 v27, v105 offset:14720
	s_waitcnt lgkmcnt(0)
	scratch_store_b32 off, v27, off offset:848 ; 4-byte Folded Spill
	;; [unrolled: 3-line block ×4, first 2 shown]
	ds_load_u16 v98, v105 offset:14848
	ds_load_u16 v99, v105 offset:15104
	ds_load_u16 v27, v105 offset:14912
	s_waitcnt lgkmcnt(0)
	scratch_store_b32 off, v27, off offset:988 ; 4-byte Folded Spill
	ds_load_u16 v27, v105 offset:15168
	s_waitcnt lgkmcnt(0)
	scratch_store_b32 off, v27, off offset:992 ; 4-byte Folded Spill
	ds_load_u16 v27, v105 offset:14976
	;; [unrolled: 3-line block ×6, first 2 shown]
	ds_load_u16 v212, v105 offset:15616
	ds_load_u16 v86, v105 offset:15424
	;; [unrolled: 1-line block ×4, first 2 shown]
	s_waitcnt lgkmcnt(0)
	scratch_store_b32 off, v27, off offset:928 ; 4-byte Folded Spill
	ds_load_u16 v27, v105 offset:15744
	s_waitcnt lgkmcnt(0)
	scratch_store_b32 off, v27, off offset:932 ; 4-byte Folded Spill
	ds_load_u16 v27, v105 offset:15808
	;; [unrolled: 3-line block ×4, first 2 shown]
	ds_load_u16 v28, v105 offset:16128
	ds_load_u16 v94, v105 offset:15936
	;; [unrolled: 1-line block ×4, first 2 shown]
	s_waitcnt lgkmcnt(0)
	scratch_store_b32 off, v77, off offset:948 ; 4-byte Folded Spill
	ds_load_u16 v77, v105 offset:16256
	s_waitcnt lgkmcnt(0)
	scratch_store_b32 off, v77, off offset:956 ; 4-byte Folded Spill
	ds_load_u16 v77, v105 offset:16320
	;; [unrolled: 3-line block ×3, first 2 shown]
	v_dual_mov_b32 v105, v128 :: v_dual_mov_b32 v106, v129
	v_dual_mov_b32 v107, v130 :: v_dual_mov_b32 v108, v131
	;; [unrolled: 1-line block ×4, first 2 shown]
	s_clause 0x1                            ; 32-byte Folded Reload
	scratch_load_b128 v[128:131], off, off offset:36
	scratch_load_b128 v[132:135], off, off offset:52
	.loc	1 61 21                         ; attention_bwd.py:61:21 @[ attention_bwd.py:200:26 ]
	s_waitcnt lgkmcnt(0)
	scratch_store_b32 off, v77, off offset:920 ; 4-byte Folded Spill
	v_dual_mov_b32 v77, v248 :: v_dual_mov_b32 v78, v249
	v_dual_mov_b32 v79, v250 :: v_dual_mov_b32 v80, v251
	;; [unrolled: 1-line block ×4, first 2 shown]
	s_waitcnt vmcnt(0)
	s_waitcnt_vscnt null, 0x0
	s_barrier
	buffer_gl0_inv
	s_cbranch_vccnz .LBB0_75
; %bb.74:
	.loc	1 0 21 is_stmt 0                ; attention_bwd.py:0:21
	s_clause 0x1                            ; 32-byte Folded Reload
	scratch_load_b128 v[128:131], off, off offset:1456
	scratch_load_b128 v[132:135], off, off offset:1472
	.loc	1 66 24 is_stmt 1               ; attention_bwd.py:66:24 @[ attention_bwd.py:200:26 ]
	s_mov_b32 s11, s4
	s_mov_b32 s5, s4
	;; [unrolled: 1-line block ×7, first 2 shown]
	s_delay_alu instid0(SALU_CYCLE_1)
	v_dual_mov_b32 v143, s11 :: v_dual_mov_b32 v142, s10
	v_dual_mov_b32 v141, s9 :: v_dual_mov_b32 v140, s8
	v_dual_mov_b32 v139, s7 :: v_dual_mov_b32 v138, s6
	v_dual_mov_b32 v137, s5 :: v_dual_mov_b32 v136, s4
	.loc	1 62 26                         ; attention_bwd.py:62:26 @[ attention_bwd.py:200:26 ]
	v_dual_mov_b32 v239, v112 :: v_dual_mov_b32 v238, v111
	v_dual_mov_b32 v237, v110 :: v_dual_mov_b32 v236, v109
	;; [unrolled: 1-line block ×12, first 2 shown]
	.loc	1 66 24                         ; attention_bwd.py:66:24 @[ attention_bwd.py:200:26 ]
	s_waitcnt vmcnt(0)
	v_wmma_f32_16x16x16_f16 v[192:199], v[32:39], v[128:135], v[136:143]
	s_clause 0x1                            ; 32-byte Folded Reload
	scratch_load_b128 v[32:35], off, off offset:1424
	scratch_load_b128 v[36:39], off, off offset:1440
	v_wmma_f32_16x16x16_f16 v[136:143], v[224:231], v[128:135], v[136:143]
	.loc	1 62 26                         ; attention_bwd.py:62:26 @[ attention_bwd.py:200:26 ]
	s_clause 0x1                            ; 32-byte Folded Reload
	scratch_load_b128 v[128:131], off, off offset:36
	scratch_load_b128 v[132:135], off, off offset:52
	.loc	1 66 24                         ; attention_bwd.py:66:24 @[ attention_bwd.py:200:26 ]
	s_waitcnt vmcnt(2)
	v_wmma_f32_16x16x16_f16 v[192:199], v[200:207], v[32:39], v[192:199]
	v_wmma_f32_16x16x16_f16 v[136:143], v[216:223], v[32:39], v[136:143]
	s_clause 0x1                            ; 32-byte Folded Reload
	scratch_load_b128 v[32:35], off, off offset:1720
	scratch_load_b128 v[36:39], off, off offset:1736
	s_waitcnt vmcnt(0)
	v_wmma_f32_16x16x16_f16 v[136:143], v[0:7], v[32:39], v[136:143]
	s_clause 0x1                            ; 32-byte Folded Reload
	scratch_load_b128 v[0:3], off, off offset:1688
	scratch_load_b128 v[4:7], off, off offset:1704
	v_wmma_f32_16x16x16_f16 v[192:199], v[184:191], v[32:39], v[192:199]
	s_waitcnt vmcnt(0)
	s_delay_alu instid0(VALU_DEP_1)
	v_wmma_f32_16x16x16_f16 v[192:199], v[144:151], v[0:7], v[192:199]
	v_wmma_f32_16x16x16_f16 v[136:143], v[176:183], v[0:7], v[136:143]
	s_clause 0x3                            ; 64-byte Folded Reload
	scratch_load_b128 v[0:3], off, off offset:1656
	scratch_load_b128 v[4:7], off, off offset:1672
	;; [unrolled: 1-line block ×4, first 2 shown]
	s_waitcnt vmcnt(2)
	v_wmma_f32_16x16x16_f16 v[136:143], v[168:175], v[0:7], v[136:143]
	s_waitcnt vmcnt(0)
	v_wmma_f32_16x16x16_f16 v[192:199], v[32:39], v[0:7], v[192:199]
	s_clause 0x3                            ; 64-byte Folded Reload
	scratch_load_b128 v[0:3], off, off offset:1560
	scratch_load_b128 v[4:7], off, off offset:1576
	;; [unrolled: 1-line block ×4, first 2 shown]
	s_waitcnt vmcnt(2)
	v_wmma_f32_16x16x16_f16 v[136:143], v[160:167], v[0:7], v[136:143]
	s_waitcnt vmcnt(0)
	v_wmma_f32_16x16x16_f16 v[192:199], v[32:39], v[0:7], v[192:199]
	.loc	1 61 21                         ; attention_bwd.py:61:21 @[ attention_bwd.py:200:26 ]
	ds_load_u16 v39, v209 offset:18176
	ds_load_u16 v38, v209 offset:17920
	;; [unrolled: 1-line block ×8, first 2 shown]
	.loc	1 62 26                         ; attention_bwd.py:62:26 @[ attention_bwd.py:200:26 ]
	v_perm_b32 v7, v76, v75, 0x5040100
	v_perm_b32 v6, v74, v73, 0x5040100
	;; [unrolled: 1-line block ×8, first 2 shown]
	.loc	1 61 21                         ; attention_bwd.py:61:21 @[ attention_bwd.py:200:26 ]
	s_waitcnt lgkmcnt(7)
	ds_load_u16_d16_hi v39, v209 offset:18304
	s_waitcnt lgkmcnt(7)
	ds_load_u16_d16_hi v38, v209 offset:18048
	;; [unrolled: 2-line block ×8, first 2 shown]
	.loc	1 62 26                         ; attention_bwd.py:62:26 @[ attention_bwd.py:200:26 ]
	s_waitcnt lgkmcnt(0)
	v_wmma_f32_16x16x16_f16 v[232:239], v[0:7], v[32:39], v[232:239]
	v_perm_b32 v7, v70, v69, 0x5040100
	v_perm_b32 v6, v64, v63, 0x5040100
	;; [unrolled: 1-line block ×8, first 2 shown]
	s_delay_alu instid0(VALU_DEP_1)
	v_wmma_f32_16x16x16_f16 v[240:247], v[0:7], v[32:39], v[240:247]
	v_perm_b32 v7, v66, v65, 0x5040100
	v_perm_b32 v6, v58, v57, 0x5040100
	;; [unrolled: 1-line block ×8, first 2 shown]
	s_delay_alu instid0(VALU_DEP_1)
	v_wmma_f32_16x16x16_f16 v[248:255], v[0:7], v[32:39], v[248:255]
	s_clause 0x1                            ; 8-byte Folded Reload
	scratch_load_b32 v0, off, off offset:996
	scratch_load_b32 v24, off, off offset:1000
	v_perm_b32 v7, v59, v60, 0x5040100
	v_perm_b32 v6, v51, v52, 0x5040100
	;; [unrolled: 1-line block ×7, first 2 shown]
	s_waitcnt vmcnt(0)
	v_perm_b32 v0, v0, v24, 0x5040100
	s_delay_alu instid0(VALU_DEP_1)
	v_wmma_f32_16x16x16_f16 v[128:135], v[0:7], v[32:39], v[128:135]
	.loc	1 66 24                         ; attention_bwd.py:66:24 @[ attention_bwd.py:200:26 ]
	s_clause 0x3                            ; 64-byte Folded Reload
	scratch_load_b128 v[0:3], off, off offset:1528
	scratch_load_b128 v[4:7], off, off offset:1544
	;; [unrolled: 1-line block ×4, first 2 shown]
	s_waitcnt vmcnt(2)
	v_wmma_f32_16x16x16_f16 v[136:143], v[152:159], v[0:7], v[136:143]
	s_waitcnt vmcnt(0)
	v_wmma_f32_16x16x16_f16 v[192:199], v[29:36], v[0:7], v[192:199]
	.loc	1 62 26                         ; attention_bwd.py:62:26 @[ attention_bwd.py:200:26 ]
	scratch_load_b32 v0, off, off offset:1004 ; 4-byte Folded Reload
	v_perm_b32 v7, v28, v27, 0x5040100
	v_perm_b32 v6, v212, v211, 0x5040100
	;; [unrolled: 1-line block ×4, first 2 shown]
	s_waitcnt vmcnt(0)
	v_perm_b32 v3, v85, v0, 0x5040100
	s_clause 0x1                            ; 8-byte Folded Reload
	scratch_load_b32 v0, off, off offset:980
	scratch_load_b32 v1, off, off offset:984
	s_waitcnt vmcnt(0)
	v_perm_b32 v2, v1, v0, 0x5040100
	s_clause 0x1                            ; 8-byte Folded Reload
	scratch_load_b32 v0, off, off offset:968
	scratch_load_b32 v1, off, off offset:972
	;; [unrolled: 5-line block ×3, first 2 shown]
	s_waitcnt vmcnt(0)
	v_perm_b32 v0, v24, v0, 0x5040100
	.loc	1 61 21                         ; attention_bwd.py:61:21 @[ attention_bwd.py:200:26 ]
	ds_load_u16 v31, v209 offset:20224
	ds_load_u16 v30, v209 offset:19968
	;; [unrolled: 1-line block ×8, first 2 shown]
	s_waitcnt lgkmcnt(7)
	ds_load_u16_d16_hi v31, v209 offset:20352
	s_waitcnt lgkmcnt(7)
	ds_load_u16_d16_hi v30, v209 offset:20096
	;; [unrolled: 2-line block ×8, first 2 shown]
	.loc	1 62 26                         ; attention_bwd.py:62:26 @[ attention_bwd.py:200:26 ]
	s_waitcnt lgkmcnt(0)
	v_wmma_f32_16x16x16_f16 v[232:239], v[0:7], v[24:31], v[232:239]
	s_clause 0x1                            ; 8-byte Folded Reload
	scratch_load_b32 v0, off, off offset:988
	scratch_load_b32 v1, off, off offset:992
	v_perm_b32 v7, v113, v94, 0x5040100
	v_perm_b32 v6, v87, v86, 0x5040100
	s_waitcnt vmcnt(0)
	v_perm_b32 v5, v1, v0, 0x5040100
	scratch_load_b32 v0, off, off offset:976 ; 4-byte Folded Reload
	s_waitcnt vmcnt(0)
	v_perm_b32 v4, v127, v0, 0x5040100
	s_clause 0x1                            ; 8-byte Folded Reload
	scratch_load_b32 v0, off, off offset:960
	scratch_load_b32 v1, off, off offset:964
	s_waitcnt vmcnt(0)
	v_perm_b32 v3, v1, v0, 0x5040100
	s_clause 0x1                            ; 8-byte Folded Reload
	scratch_load_b32 v0, off, off offset:936
	scratch_load_b32 v1, off, off offset:940
	;; [unrolled: 5-line block ×4, first 2 shown]
	s_waitcnt vmcnt(0)
	v_perm_b32 v0, v32, v0, 0x5040100
	s_delay_alu instid0(VALU_DEP_1)
	v_wmma_f32_16x16x16_f16 v[240:247], v[0:7], v[24:31], v[240:247]
	s_clause 0x1                            ; 8-byte Folded Reload
	scratch_load_b32 v0, off, off offset:948
	scratch_load_b32 v1, off, off offset:956
	s_waitcnt vmcnt(0)
	v_perm_b32 v7, v1, v0, 0x5040100
	s_clause 0x1                            ; 8-byte Folded Reload
	scratch_load_b32 v0, off, off offset:928
	scratch_load_b32 v1, off, off offset:932
	s_waitcnt vmcnt(0)
	v_perm_b32 v6, v1, v0, 0x5040100
	;; [unrolled: 5-line block ×8, first 2 shown]
	s_delay_alu instid0(VALU_DEP_1)
	v_wmma_f32_16x16x16_f16 v[248:255], v[0:7], v[24:31], v[248:255]
	s_clause 0x1                            ; 8-byte Folded Reload
	scratch_load_b32 v0, off, off offset:904
	scratch_load_b32 v1, off, off offset:920
	s_waitcnt vmcnt(0)
	v_perm_b32 v7, v0, v1, 0x5040100
	s_clause 0x1                            ; 8-byte Folded Reload
	scratch_load_b32 v0, off, off offset:856
	scratch_load_b32 v1, off, off offset:872
	s_waitcnt vmcnt(0)
	v_perm_b32 v6, v0, v1, 0x5040100
	s_clause 0x1                            ; 8-byte Folded Reload
	scratch_load_b32 v0, off, off offset:824
	scratch_load_b32 v1, off, off offset:832
	s_waitcnt vmcnt(0)
	v_perm_b32 v5, v0, v1, 0x5040100
	s_clause 0x1                            ; 8-byte Folded Reload
	scratch_load_b32 v0, off, off offset:792
	scratch_load_b32 v1, off, off offset:800
	s_waitcnt vmcnt(0)
	v_perm_b32 v4, v0, v1, 0x5040100
	s_clause 0x1                            ; 8-byte Folded Reload
	scratch_load_b32 v0, off, off offset:760
	scratch_load_b32 v1, off, off offset:768
	s_waitcnt vmcnt(0)
	v_perm_b32 v3, v0, v1, 0x5040100
	s_clause 0x1                            ; 8-byte Folded Reload
	scratch_load_b32 v0, off, off offset:728
	scratch_load_b32 v1, off, off offset:736
	s_waitcnt vmcnt(0)
	v_perm_b32 v2, v0, v1, 0x5040100
	s_clause 0x1                            ; 8-byte Folded Reload
	scratch_load_b32 v0, off, off offset:696
	scratch_load_b32 v1, off, off offset:704
	s_waitcnt vmcnt(0)
	v_perm_b32 v1, v0, v1, 0x5040100
	s_clause 0x1                            ; 8-byte Folded Reload
	scratch_load_b32 v0, off, off offset:680
	scratch_load_b32 v32, off, off offset:688
	s_waitcnt vmcnt(0)
	v_perm_b32 v0, v0, v32, 0x5040100
	s_delay_alu instid0(VALU_DEP_1)
	v_wmma_f32_16x16x16_f16 v[128:135], v[0:7], v[24:31], v[128:135]
	.loc	1 66 24                         ; attention_bwd.py:66:24 @[ attention_bwd.py:200:26 ]
	s_clause 0x3                            ; 64-byte Folded Reload
	scratch_load_b128 v[0:3], off, off offset:1496
	scratch_load_b128 v[4:7], off, off offset:1512
	;; [unrolled: 1-line block ×4, first 2 shown]
	s_waitcnt vmcnt(0)
	v_wmma_f32_16x16x16_f16 v[192:199], v[24:31], v[0:7], v[192:199]
	s_clause 0x1                            ; 32-byte Folded Reload
	scratch_load_b128 v[24:27], off, off offset:584
	scratch_load_b128 v[28:31], off, off offset:600
	s_waitcnt vmcnt(0)
	v_wmma_f32_16x16x16_f16 v[136:143], v[24:31], v[0:7], v[136:143]
.LBB0_75:
	.loc	1 67 26                         ; attention_bwd.py:67:26 @[ attention_bwd.py:200:26 ]
	s_clause 0xf                            ; 64-byte Folded Reload
	scratch_load_b32 v0, off, off offset:292
	scratch_load_b32 v1, off, off offset:288
	scratch_load_b32 v24, off, off offset:284
	scratch_load_b32 v25, off, off offset:280
	scratch_load_b32 v26, off, off offset:276
	scratch_load_b32 v27, off, off offset:272
	scratch_load_b32 v28, off, off offset:268
	scratch_load_b32 v29, off, off offset:264
	scratch_load_b32 v2, off, off offset:252
	scratch_load_b32 v4, off, off offset:244
	scratch_load_b32 v5, off, off offset:240
	scratch_load_b32 v6, off, off offset:208
	scratch_load_b32 v7, off, off offset:204
	scratch_load_b32 v30, off, off offset:260
	scratch_load_b32 v31, off, off offset:256
	scratch_load_b32 v3, off, off offset:248
	.loc	1 69 26                         ; attention_bwd.py:69:26 @[ attention_bwd.py:200:26 ]
	s_and_b32 vcc_lo, exec_lo, s2
	.loc	1 67 26                         ; attention_bwd.py:67:26 @[ attention_bwd.py:200:26 ]
	s_waitcnt vmcnt(14)
	v_dual_sub_f32 v0, v192, v0 :: v_dual_sub_f32 v1, v193, v1
	s_waitcnt vmcnt(12)
	v_dual_sub_f32 v24, v136, v24 :: v_dual_sub_f32 v25, v137, v25
	;; [unrolled: 2-line block ×4, first 2 shown]
	s_waitcnt vmcnt(7)
	v_sub_f32_e32 v2, v194, v2
	s_waitcnt vmcnt(5)
	v_dual_sub_f32 v4, v196, v4 :: v_dual_sub_f32 v5, v197, v5
	s_waitcnt vmcnt(3)
	v_dual_sub_f32 v6, v198, v6 :: v_dual_sub_f32 v7, v199, v7
	;; [unrolled: 2-line block ×3, first 2 shown]
	s_waitcnt vmcnt(0)
	v_sub_f32_e32 v3, v195, v3
	.loc	1 68 21                         ; attention_bwd.py:68:21 @[ attention_bwd.py:200:26 ]
	v_fma_mixlo_f16 v0, v8, v0, 0
	v_fma_mixlo_f16 v1, v9, v1, 0
	;; [unrolled: 1-line block ×16, first 2 shown]
	s_barrier
	buffer_gl0_inv
	ds_store_b16 v118, v0 offset:16384
	ds_store_b16 v118, v1 offset:16640
	ds_store_b16 v118, v2 offset:16896
	ds_store_b16 v118, v3 offset:17152
	ds_store_b16 v118, v4 offset:17408
	ds_store_b16 v118, v5 offset:17664
	ds_store_b16 v118, v6 offset:17920
	ds_store_b16 v118, v7 offset:18176
	ds_store_b16 v118, v8 offset:18432
	ds_store_b16 v118, v9 offset:18688
	ds_store_b16 v118, v10 offset:18944
	ds_store_b16 v118, v11 offset:19200
	ds_store_b16 v118, v12 offset:19456
	ds_store_b16 v118, v13 offset:19712
	ds_store_b16 v118, v14 offset:19968
	ds_store_b16 v118, v15 offset:20224
	s_waitcnt lgkmcnt(0)
	s_barrier
	buffer_gl0_inv
	s_cbranch_vccnz .LBB0_77
; %bb.76:
	.loc	1 69 26                         ; attention_bwd.py:69:26 @[ attention_bwd.py:200:26 ]
	s_clause 0x3                            ; 64-byte Folded Reload
	scratch_load_b128 v[44:47], off, off offset:140
	scratch_load_b128 v[48:51], off, off offset:156
	;; [unrolled: 1-line block ×4, first 2 shown]
	.loc	1 68 21                         ; attention_bwd.py:68:21 @[ attention_bwd.py:200:26 ]
	ds_load_u16 v7, v209 offset:18176
	ds_load_u16 v6, v209 offset:17920
	;; [unrolled: 1-line block ×8, first 2 shown]
	.loc	1 69 26                         ; attention_bwd.py:69:26 @[ attention_bwd.py:200:26 ]
	s_clause 0x3                            ; 64-byte Folded Reload
	scratch_load_b128 v[36:39], off, off offset:172
	scratch_load_b128 v[40:43], off, off offset:188
	;; [unrolled: 1-line block ×4, first 2 shown]
	.loc	1 68 21                         ; attention_bwd.py:68:21 @[ attention_bwd.py:200:26 ]
	s_waitcnt lgkmcnt(7)
	ds_load_u16_d16_hi v7, v209 offset:18304
	s_waitcnt lgkmcnt(7)
	ds_load_u16_d16_hi v6, v209 offset:18048
	;; [unrolled: 2-line block ×8, first 2 shown]
	.loc	1 69 26                         ; attention_bwd.py:69:26 @[ attention_bwd.py:200:26 ]
	s_waitcnt vmcnt(4) lgkmcnt(0)
	v_wmma_f32_16x16x16_f16 v[44:51], v[16:23], v[0:7], v[44:51]
	s_clause 0x3                            ; 64-byte Folded Reload
	scratch_load_b128 v[52:55], off, off offset:108
	scratch_load_b128 v[56:59], off, off offset:124
	;; [unrolled: 1-line block ×4, first 2 shown]
	s_waitcnt vmcnt(4)
	v_wmma_f32_16x16x16_f16 v[36:43], v[8:15], v[0:7], v[36:43]
	.loc	1 68 21                         ; attention_bwd.py:68:21 @[ attention_bwd.py:200:26 ]
	ds_load_u16 v15, v209 offset:20224
	ds_load_u16 v14, v209 offset:19968
	;; [unrolled: 1-line block ×8, first 2 shown]
	s_waitcnt lgkmcnt(7)
	ds_load_u16_d16_hi v15, v209 offset:20352
	s_waitcnt lgkmcnt(7)
	ds_load_u16_d16_hi v14, v209 offset:20096
	;; [unrolled: 2-line block ×8, first 2 shown]
	.loc	1 69 26                         ; attention_bwd.py:69:26 @[ attention_bwd.py:200:26 ]
	s_waitcnt vmcnt(0)
	v_wmma_f32_16x16x16_f16 v[52:59], v[16:23], v[0:7], v[52:59]
	s_clause 0x3                            ; 64-byte Folded Reload
	scratch_load_b128 v[60:63], off, off offset:76
	scratch_load_b128 v[64:67], off, off offset:92
	;; [unrolled: 1-line block ×4, first 2 shown]
	s_waitcnt vmcnt(0)
	v_wmma_f32_16x16x16_f16 v[60:67], v[16:23], v[0:7], v[60:67]
	s_clause 0x1                            ; 32-byte Folded Reload
	scratch_load_b128 v[0:3], off, off offset:4
	scratch_load_b128 v[4:7], off, off offset:20
	s_waitcnt vmcnt(0) lgkmcnt(0)
	v_wmma_f32_16x16x16_f16 v[36:43], v[0:7], v[8:15], v[36:43]
	s_clause 0x1                            ; 32-byte Folded Reload
	scratch_load_b128 v[0:3], off, off offset:328
	scratch_load_b128 v[4:7], off, off offset:344
	s_waitcnt vmcnt(0)
	v_wmma_f32_16x16x16_f16 v[44:51], v[0:7], v[8:15], v[44:51]
	s_clause 0x1                            ; 32-byte Folded Reload
	scratch_load_b128 v[0:3], off, off offset:360
	scratch_load_b128 v[4:7], off, off offset:376
	s_waitcnt vmcnt(0)
	v_wmma_f32_16x16x16_f16 v[52:59], v[0:7], v[8:15], v[52:59]
	s_clause 0x1                            ; 32-byte Folded Reload
	scratch_load_b128 v[0:3], off, off offset:296
	scratch_load_b128 v[4:7], off, off offset:312
	s_waitcnt vmcnt(0)
	v_wmma_f32_16x16x16_f16 v[60:67], v[0:7], v[8:15], v[60:67]
	s_clause 0x18                           ; 128-byte Folded Reload
	scratch_load_b32 v160, off, off offset:2016
	scratch_load_b32 v161, off, off offset:2136
	;; [unrolled: 1-line block ×17, first 2 shown]
	scratch_load_b64 v[177:178], off, off offset:2232
	scratch_load_b64 v[179:180], off, off offset:2280
	;; [unrolled: 1-line block ×7, first 2 shown]
	scratch_load_b32 v1, off, off offset:2012
	s_branch .LBB0_78
.Ltmp26:
.LBB0_77:
	.loc	1 0 26 is_stmt 0                ; attention_bwd.py:0:26
	s_clause 0x1f                           ; 240-byte Folded Reload
	scratch_load_b32 v160, off, off offset:2016
	scratch_load_b32 v161, off, off offset:2136
	;; [unrolled: 1-line block ×17, first 2 shown]
	scratch_load_b64 v[177:178], off, off offset:2232
	scratch_load_b64 v[179:180], off, off offset:2280
	;; [unrolled: 1-line block ×7, first 2 shown]
	scratch_load_b32 v1, off, off offset:2012
	scratch_load_b128 v[60:63], off, off offset:76
	scratch_load_b128 v[64:67], off, off offset:92
	;; [unrolled: 1-line block ×7, first 2 shown]
	s_clause 0x2                            ; 48-byte Folded Reload
	scratch_load_b128 v[40:43], off, off offset:188
	scratch_load_b128 v[128:131], off, off offset:36
	;; [unrolled: 1-line block ×3, first 2 shown]
	v_dual_mov_b32 v255, v84 :: v_dual_mov_b32 v254, v83
	v_dual_mov_b32 v247, v126 :: v_dual_mov_b32 v246, v125
	;; [unrolled: 1-line block ×12, first 2 shown]
.LBB0_78:                               ; %._crit_edge373
	.loc	1 171 58 is_stmt 1              ; attention_bwd.py:171:58
	s_clause 0x1                            ; 12-byte Folded Reload
	scratch_load_b32 v2, off, off offset:2464
	scratch_load_b64 v[145:146], off, off offset:2424
	s_waitcnt vmcnt(2)
	v_lshrrev_b32_e32 v1, 1, v1
	.loc	1 205 22                        ; attention_bwd.py:205:22
	v_cvt_f16_f32_e64 v9, v236
	v_cvt_f16_f32_e64 v10, v237
	.loc	1 210 22                        ; attention_bwd.py:210:22
	v_fma_mixlo_f16 v36, s0, v36, 0
	v_fma_mixlo_f16 v37, s0, v37, 0
	;; [unrolled: 1-line block ×32, first 2 shown]
	.loc	1 153 10                        ; attention_bwd.py:153:10
	s_add_u32 s0, s46, s34
	s_addc_u32 s1, s47, s35
	.loc	1 154 10                        ; attention_bwd.py:154:10
	s_add_u32 s4, s26, s34
	s_addc_u32 s5, s27, s35
	.loc	1 205 22                        ; attention_bwd.py:205:22
	v_cvt_f16_f32_e64 v5, v232
	v_cvt_f16_f32_e64 v20, v247
	;; [unrolled: 1-line block ×30, first 2 shown]
	s_clause 0xe                            ; 120-byte Folded Reload
	scratch_load_b64 v[131:132], off, off offset:2112
	scratch_load_b64 v[102:103], off, off offset:2304
	;; [unrolled: 1-line block ×15, first 2 shown]
	.loc	1 171 58                        ; attention_bwd.py:171:58
	s_waitcnt vmcnt(16)
	v_or_b32_e32 v68, v2, v1
	.loc	1 165 36                        ; attention_bwd.py:165:36
	scratch_load_b32 v1, off, off offset:2468 ; 4-byte Folded Reload
	.loc	1 171 69                        ; attention_bwd.py:171:69
	v_mul_lo_u32 v3, s23, v68
	s_delay_alu instid0(VALU_DEP_1) | instskip(NEXT) | instid1(VALU_DEP_1)
	.loc	1 204 50                        ; attention_bwd.py:204:50
	v_ashrrev_i32_e32 v4, 31, v3
	v_lshlrev_b64 v[149:150], 1, v[3:4]
	.loc	1 165 36                        ; attention_bwd.py:165:36
	s_waitcnt vmcnt(0)
	v_lshrrev_b32_e32 v1, 2, v1
	s_delay_alu instid0(VALU_DEP_1) | instskip(NEXT) | instid1(VALU_DEP_1)
	.loc	1 165 23 is_stmt 0              ; attention_bwd.py:165:23
	v_or3_b32 v1, v160, v1, s33
	.loc	1 171 38 is_stmt 1              ; attention_bwd.py:171:38
	v_mul_lo_u32 v1, s22, v1
	s_delay_alu instid0(VALU_DEP_1) | instskip(NEXT) | instid1(VALU_DEP_1)
	.loc	1 204 19                        ; attention_bwd.py:204:19
	v_ashrrev_i32_e32 v2, 31, v1
	v_lshlrev_b64 v[236:237], 1, v[1:2]
	s_delay_alu instid0(VALU_DEP_1) | instskip(NEXT) | instid1(VALU_DEP_1)
	v_add_co_u32 v3, vcc_lo, s4, v236
	v_add_co_ci_u32_e64 v4, null, s5, v237, vcc_lo
	s_delay_alu instid0(VALU_DEP_2) | instskip(NEXT) | instid1(VALU_DEP_1)
	.loc	1 204 50 is_stmt 0              ; attention_bwd.py:204:50
	v_add_co_u32 v1, vcc_lo, v3, v149
	v_add_co_ci_u32_e64 v2, null, v4, v150, vcc_lo
	.loc	1 205 22 is_stmt 1              ; attention_bwd.py:205:22
	global_store_b16 v[1:2], v5, off
	.loc	1 171 58                        ; attention_bwd.py:171:58
	v_or_b32_e32 v1, 2, v68
	s_delay_alu instid0(VALU_DEP_1) | instskip(NEXT) | instid1(VALU_DEP_1)
	.loc	1 171 69 is_stmt 0              ; attention_bwd.py:171:69
	v_mul_lo_u32 v1, s23, v1
	.loc	1 204 50 is_stmt 1              ; attention_bwd.py:204:50
	v_ashrrev_i32_e32 v2, 31, v1
	s_delay_alu instid0(VALU_DEP_1) | instskip(NEXT) | instid1(VALU_DEP_1)
	v_lshlrev_b64 v[247:248], 1, v[1:2]
	v_add_co_u32 v1, vcc_lo, v3, v247
	s_delay_alu instid0(VALU_DEP_1) | instskip(SKIP_2) | instid1(VALU_DEP_1)
	v_add_co_ci_u32_e64 v2, null, v4, v248, vcc_lo
	.loc	1 205 22                        ; attention_bwd.py:205:22
	global_store_b16 v[1:2], v6, off
	.loc	1 171 58                        ; attention_bwd.py:171:58
	v_or_b32_e32 v1, 4, v68
	.loc	1 171 69 is_stmt 0              ; attention_bwd.py:171:69
	v_mul_lo_u32 v1, s23, v1
	s_delay_alu instid0(VALU_DEP_1) | instskip(NEXT) | instid1(VALU_DEP_1)
	.loc	1 204 50 is_stmt 1              ; attention_bwd.py:204:50
	v_ashrrev_i32_e32 v2, 31, v1
	v_lshlrev_b64 v[69:70], 1, v[1:2]
	s_delay_alu instid0(VALU_DEP_1) | instskip(NEXT) | instid1(VALU_DEP_1)
	v_add_co_u32 v1, vcc_lo, v3, v69
	v_add_co_ci_u32_e64 v2, null, v4, v70, vcc_lo
	.loc	1 205 22                        ; attention_bwd.py:205:22
	global_store_b16 v[1:2], v7, off
	.loc	1 171 58                        ; attention_bwd.py:171:58
	v_or_b32_e32 v1, 6, v68
	s_delay_alu instid0(VALU_DEP_1) | instskip(NEXT) | instid1(VALU_DEP_1)
	.loc	1 171 69 is_stmt 0              ; attention_bwd.py:171:69
	v_mul_lo_u32 v1, s23, v1
	.loc	1 204 50 is_stmt 1              ; attention_bwd.py:204:50
	v_ashrrev_i32_e32 v2, 31, v1
	s_delay_alu instid0(VALU_DEP_1) | instskip(SKIP_2) | instid1(VALU_DEP_1)
	v_lshlrev_b64 v[71:72], 1, v[1:2]
	scratch_store_b64 off, v[69:70], off offset:680 ; 8-byte Folded Spill
	v_add_co_u32 v1, vcc_lo, v3, v71
	v_add_co_ci_u32_e64 v2, null, v4, v72, vcc_lo
	.loc	1 205 22                        ; attention_bwd.py:205:22
	global_store_b16 v[1:2], v8, off
	.loc	1 171 58                        ; attention_bwd.py:171:58
	v_or_b32_e32 v1, 8, v68
	s_delay_alu instid0(VALU_DEP_1) | instskip(NEXT) | instid1(VALU_DEP_1)
	.loc	1 171 69 is_stmt 0              ; attention_bwd.py:171:69
	v_mul_lo_u32 v1, s23, v1
	.loc	1 204 50 is_stmt 1              ; attention_bwd.py:204:50
	v_ashrrev_i32_e32 v2, 31, v1
	s_delay_alu instid0(VALU_DEP_1) | instskip(SKIP_2) | instid1(VALU_DEP_1)
	v_lshlrev_b64 v[73:74], 1, v[1:2]
	scratch_store_b64 off, v[71:72], off offset:688 ; 8-byte Folded Spill
	v_add_co_u32 v1, vcc_lo, v3, v73
	v_add_co_ci_u32_e64 v2, null, v4, v74, vcc_lo
	.loc	1 205 22                        ; attention_bwd.py:205:22
	global_store_b16 v[1:2], v9, off
	.loc	1 171 58                        ; attention_bwd.py:171:58
	v_or_b32_e32 v1, 10, v68
	s_delay_alu instid0(VALU_DEP_1) | instskip(NEXT) | instid1(VALU_DEP_1)
	.loc	1 171 69 is_stmt 0              ; attention_bwd.py:171:69
	v_mul_lo_u32 v1, s23, v1
	.loc	1 204 50 is_stmt 1              ; attention_bwd.py:204:50
	v_ashrrev_i32_e32 v2, 31, v1
	s_delay_alu instid0(VALU_DEP_1) | instskip(SKIP_4) | instid1(VALU_DEP_1)
	v_lshlrev_b64 v[75:76], 1, v[1:2]
	s_clause 0x1                            ; 16-byte Folded Spill
	scratch_store_b64 off, v[73:74], off offset:696
	scratch_store_b64 off, v[75:76], off offset:704
	v_add_co_u32 v1, vcc_lo, v3, v75
	v_add_co_ci_u32_e64 v2, null, v4, v76, vcc_lo
	.loc	1 205 22                        ; attention_bwd.py:205:22
	global_store_b16 v[1:2], v10, off
	.loc	1 171 58                        ; attention_bwd.py:171:58
	v_or_b32_e32 v1, 12, v68
	s_delay_alu instid0(VALU_DEP_1) | instskip(NEXT) | instid1(VALU_DEP_1)
	.loc	1 171 69 is_stmt 0              ; attention_bwd.py:171:69
	v_mul_lo_u32 v1, s23, v1
	.loc	1 204 50 is_stmt 1              ; attention_bwd.py:204:50
	v_ashrrev_i32_e32 v2, 31, v1
	s_delay_alu instid0(VALU_DEP_1) | instskip(NEXT) | instid1(VALU_DEP_1)
	v_lshlrev_b64 v[77:78], 1, v[1:2]
	v_add_co_u32 v1, vcc_lo, v3, v77
	s_delay_alu instid0(VALU_DEP_1) | instskip(SKIP_2) | instid1(VALU_DEP_1)
	v_add_co_ci_u32_e64 v2, null, v4, v78, vcc_lo
	.loc	1 205 22                        ; attention_bwd.py:205:22
	global_store_b16 v[1:2], v11, off
	.loc	1 171 58                        ; attention_bwd.py:171:58
	v_or_b32_e32 v1, 14, v68
	.loc	1 171 69 is_stmt 0              ; attention_bwd.py:171:69
	v_mul_lo_u32 v1, s23, v1
	s_delay_alu instid0(VALU_DEP_1) | instskip(NEXT) | instid1(VALU_DEP_1)
	.loc	1 204 50 is_stmt 1              ; attention_bwd.py:204:50
	v_ashrrev_i32_e32 v2, 31, v1
	v_lshlrev_b64 v[79:80], 1, v[1:2]
	scratch_store_b64 off, v[77:78], off offset:712 ; 8-byte Folded Spill
	v_add_co_u32 v1, vcc_lo, v3, v79
	s_delay_alu instid0(VALU_DEP_1) | instskip(SKIP_2) | instid1(VALU_DEP_1)
	v_add_co_ci_u32_e64 v2, null, v4, v80, vcc_lo
	.loc	1 205 22                        ; attention_bwd.py:205:22
	global_store_b16 v[1:2], v12, off
	.loc	1 171 58                        ; attention_bwd.py:171:58
	v_or_b32_e32 v1, 32, v68
	.loc	1 171 69 is_stmt 0              ; attention_bwd.py:171:69
	v_mul_lo_u32 v1, s23, v1
	s_delay_alu instid0(VALU_DEP_1) | instskip(NEXT) | instid1(VALU_DEP_1)
	.loc	1 204 50 is_stmt 1              ; attention_bwd.py:204:50
	v_ashrrev_i32_e32 v2, 31, v1
	v_lshlrev_b64 v[81:82], 1, v[1:2]
	scratch_store_b64 off, v[79:80], off offset:720 ; 8-byte Folded Spill
	v_add_co_u32 v1, vcc_lo, v3, v81
	s_delay_alu instid0(VALU_DEP_1) | instskip(SKIP_2) | instid1(VALU_DEP_1)
	v_add_co_ci_u32_e64 v2, null, v4, v82, vcc_lo
	.loc	1 205 22                        ; attention_bwd.py:205:22
	global_store_b16 v[1:2], v13, off
	.loc	1 171 58                        ; attention_bwd.py:171:58
	v_or_b32_e32 v1, 34, v68
	.loc	1 171 69 is_stmt 0              ; attention_bwd.py:171:69
	v_mul_lo_u32 v1, s23, v1
	s_delay_alu instid0(VALU_DEP_1) | instskip(NEXT) | instid1(VALU_DEP_1)
	.loc	1 204 50 is_stmt 1              ; attention_bwd.py:204:50
	v_ashrrev_i32_e32 v2, 31, v1
	v_lshlrev_b64 v[83:84], 1, v[1:2]
	s_clause 0x1                            ; 16-byte Folded Spill
	scratch_store_b64 off, v[81:82], off offset:728
	scratch_store_b64 off, v[83:84], off offset:736
	v_add_co_u32 v1, vcc_lo, v3, v83
	s_delay_alu instid0(VALU_DEP_1) | instskip(SKIP_2) | instid1(VALU_DEP_1)
	v_add_co_ci_u32_e64 v2, null, v4, v84, vcc_lo
	.loc	1 205 22                        ; attention_bwd.py:205:22
	global_store_b16 v[1:2], v14, off
	.loc	1 171 58                        ; attention_bwd.py:171:58
	v_or_b32_e32 v1, 36, v68
	.loc	1 171 69 is_stmt 0              ; attention_bwd.py:171:69
	v_mul_lo_u32 v1, s23, v1
	s_delay_alu instid0(VALU_DEP_1) | instskip(NEXT) | instid1(VALU_DEP_1)
	.loc	1 204 50 is_stmt 1              ; attention_bwd.py:204:50
	v_ashrrev_i32_e32 v2, 31, v1
	v_lshlrev_b64 v[85:86], 1, v[1:2]
	s_delay_alu instid0(VALU_DEP_1) | instskip(NEXT) | instid1(VALU_DEP_1)
	v_add_co_u32 v1, vcc_lo, v3, v85
	v_add_co_ci_u32_e64 v2, null, v4, v86, vcc_lo
	.loc	1 205 22                        ; attention_bwd.py:205:22
	global_store_b16 v[1:2], v15, off
	.loc	1 171 58                        ; attention_bwd.py:171:58
	v_or_b32_e32 v1, 38, v68
	s_delay_alu instid0(VALU_DEP_1) | instskip(NEXT) | instid1(VALU_DEP_1)
	.loc	1 171 69 is_stmt 0              ; attention_bwd.py:171:69
	v_mul_lo_u32 v1, s23, v1
	.loc	1 204 50 is_stmt 1              ; attention_bwd.py:204:50
	v_ashrrev_i32_e32 v2, 31, v1
	s_delay_alu instid0(VALU_DEP_1) | instskip(SKIP_2) | instid1(VALU_DEP_1)
	v_lshlrev_b64 v[87:88], 1, v[1:2]
	scratch_store_b64 off, v[85:86], off offset:744 ; 8-byte Folded Spill
	v_add_co_u32 v1, vcc_lo, v3, v87
	v_add_co_ci_u32_e64 v2, null, v4, v88, vcc_lo
	.loc	1 205 22                        ; attention_bwd.py:205:22
	global_store_b16 v[1:2], v16, off
	.loc	1 171 58                        ; attention_bwd.py:171:58
	v_or_b32_e32 v1, 40, v68
	s_delay_alu instid0(VALU_DEP_1) | instskip(NEXT) | instid1(VALU_DEP_1)
	.loc	1 171 69 is_stmt 0              ; attention_bwd.py:171:69
	v_mul_lo_u32 v1, s23, v1
	.loc	1 204 50 is_stmt 1              ; attention_bwd.py:204:50
	v_ashrrev_i32_e32 v2, 31, v1
	s_delay_alu instid0(VALU_DEP_1) | instskip(SKIP_2) | instid1(VALU_DEP_1)
	v_lshlrev_b64 v[89:90], 1, v[1:2]
	scratch_store_b64 off, v[87:88], off offset:752 ; 8-byte Folded Spill
	v_add_co_u32 v1, vcc_lo, v3, v89
	v_add_co_ci_u32_e64 v2, null, v4, v90, vcc_lo
	.loc	1 205 22                        ; attention_bwd.py:205:22
	global_store_b16 v[1:2], v17, off
	.loc	1 171 58                        ; attention_bwd.py:171:58
	v_or_b32_e32 v1, 42, v68
	s_delay_alu instid0(VALU_DEP_1) | instskip(NEXT) | instid1(VALU_DEP_1)
	.loc	1 171 69 is_stmt 0              ; attention_bwd.py:171:69
	v_mul_lo_u32 v1, s23, v1
	.loc	1 204 50 is_stmt 1              ; attention_bwd.py:204:50
	v_ashrrev_i32_e32 v2, 31, v1
	s_delay_alu instid0(VALU_DEP_1) | instskip(SKIP_4) | instid1(VALU_DEP_1)
	v_lshlrev_b64 v[91:92], 1, v[1:2]
	s_clause 0x1                            ; 16-byte Folded Spill
	scratch_store_b64 off, v[89:90], off offset:760
	scratch_store_b64 off, v[91:92], off offset:768
	v_add_co_u32 v1, vcc_lo, v3, v91
	v_add_co_ci_u32_e64 v2, null, v4, v92, vcc_lo
	.loc	1 205 22                        ; attention_bwd.py:205:22
	global_store_b16 v[1:2], v18, off
	.loc	1 171 58                        ; attention_bwd.py:171:58
	v_or_b32_e32 v1, 44, v68
	s_delay_alu instid0(VALU_DEP_1) | instskip(NEXT) | instid1(VALU_DEP_1)
	.loc	1 171 69 is_stmt 0              ; attention_bwd.py:171:69
	v_mul_lo_u32 v1, s23, v1
	.loc	1 204 50 is_stmt 1              ; attention_bwd.py:204:50
	v_ashrrev_i32_e32 v2, 31, v1
	s_delay_alu instid0(VALU_DEP_1) | instskip(NEXT) | instid1(VALU_DEP_1)
	v_lshlrev_b64 v[147:148], 1, v[1:2]
	v_add_co_u32 v1, vcc_lo, v3, v147
	s_delay_alu instid0(VALU_DEP_1) | instskip(SKIP_2) | instid1(VALU_DEP_1)
	v_add_co_ci_u32_e64 v2, null, v4, v148, vcc_lo
	.loc	1 205 22                        ; attention_bwd.py:205:22
	global_store_b16 v[1:2], v19, off
	.loc	1 171 58                        ; attention_bwd.py:171:58
	v_or_b32_e32 v1, 46, v68
	.loc	1 171 69 is_stmt 0              ; attention_bwd.py:171:69
	v_mul_lo_u32 v1, s23, v1
	s_delay_alu instid0(VALU_DEP_1) | instskip(NEXT) | instid1(VALU_DEP_1)
	.loc	1 204 50 is_stmt 1              ; attention_bwd.py:204:50
	v_ashrrev_i32_e32 v2, 31, v1
	v_lshlrev_b64 v[93:94], 1, v[1:2]
	s_delay_alu instid0(VALU_DEP_1) | instskip(NEXT) | instid1(VALU_DEP_1)
	v_add_co_u32 v1, vcc_lo, v3, v93
	v_add_co_ci_u32_e64 v2, null, v4, v94, vcc_lo
	v_dual_mov_b32 v152, v94 :: v_dual_mov_b32 v151, v93
	.loc	1 205 22                        ; attention_bwd.py:205:22
	global_store_b16 v[1:2], v20, off
	.loc	1 171 58                        ; attention_bwd.py:171:58
	v_or_b32_e32 v1, 64, v68
	s_delay_alu instid0(VALU_DEP_1) | instskip(NEXT) | instid1(VALU_DEP_1)
	.loc	1 171 69 is_stmt 0              ; attention_bwd.py:171:69
	v_mul_lo_u32 v1, s23, v1
	.loc	1 204 50 is_stmt 1              ; attention_bwd.py:204:50
	v_ashrrev_i32_e32 v2, 31, v1
	s_delay_alu instid0(VALU_DEP_1) | instskip(NEXT) | instid1(VALU_DEP_1)
	v_lshlrev_b64 v[95:96], 1, v[1:2]
	v_add_co_u32 v1, vcc_lo, v3, v95
	s_delay_alu instid0(VALU_DEP_1) | instskip(SKIP_3) | instid1(VALU_DEP_1)
	v_add_co_ci_u32_e64 v2, null, v4, v96, vcc_lo
	v_dual_mov_b32 v154, v96 :: v_dual_mov_b32 v153, v95
	.loc	1 205 22                        ; attention_bwd.py:205:22
	global_store_b16 v[1:2], v21, off
	.loc	1 171 58                        ; attention_bwd.py:171:58
	v_or_b32_e32 v1, 0x42, v68
	.loc	1 171 69 is_stmt 0              ; attention_bwd.py:171:69
	v_mul_lo_u32 v1, s23, v1
	s_delay_alu instid0(VALU_DEP_1) | instskip(NEXT) | instid1(VALU_DEP_1)
	.loc	1 204 50 is_stmt 1              ; attention_bwd.py:204:50
	v_ashrrev_i32_e32 v2, 31, v1
	v_lshlrev_b64 v[249:250], 1, v[1:2]
	s_delay_alu instid0(VALU_DEP_1) | instskip(NEXT) | instid1(VALU_DEP_1)
	v_add_co_u32 v1, vcc_lo, v3, v249
	v_add_co_ci_u32_e64 v2, null, v4, v250, vcc_lo
	.loc	1 205 22                        ; attention_bwd.py:205:22
	global_store_b16 v[1:2], v22, off
	.loc	1 171 58                        ; attention_bwd.py:171:58
	v_or_b32_e32 v1, 0x44, v68
	s_delay_alu instid0(VALU_DEP_1) | instskip(NEXT) | instid1(VALU_DEP_1)
	.loc	1 171 69 is_stmt 0              ; attention_bwd.py:171:69
	v_mul_lo_u32 v1, s23, v1
	.loc	1 204 50 is_stmt 1              ; attention_bwd.py:204:50
	v_ashrrev_i32_e32 v2, 31, v1
	s_delay_alu instid0(VALU_DEP_1) | instskip(NEXT) | instid1(VALU_DEP_1)
	v_lshlrev_b64 v[251:252], 1, v[1:2]
	v_add_co_u32 v1, vcc_lo, v3, v251
	s_delay_alu instid0(VALU_DEP_1) | instskip(SKIP_2) | instid1(VALU_DEP_1)
	v_add_co_ci_u32_e64 v2, null, v4, v252, vcc_lo
	.loc	1 205 22                        ; attention_bwd.py:205:22
	global_store_b16 v[1:2], v23, off
	.loc	1 171 58                        ; attention_bwd.py:171:58
	v_or_b32_e32 v1, 0x46, v68
	.loc	1 171 69 is_stmt 0              ; attention_bwd.py:171:69
	v_mul_lo_u32 v1, s23, v1
	s_delay_alu instid0(VALU_DEP_1) | instskip(NEXT) | instid1(VALU_DEP_1)
	.loc	1 204 50 is_stmt 1              ; attention_bwd.py:204:50
	v_ashrrev_i32_e32 v2, 31, v1
	v_lshlrev_b64 v[253:254], 1, v[1:2]
	s_delay_alu instid0(VALU_DEP_1) | instskip(NEXT) | instid1(VALU_DEP_1)
	v_add_co_u32 v1, vcc_lo, v3, v253
	v_add_co_ci_u32_e64 v2, null, v4, v254, vcc_lo
	.loc	1 205 22                        ; attention_bwd.py:205:22
	global_store_b16 v[1:2], v24, off
	.loc	1 171 58                        ; attention_bwd.py:171:58
	v_or_b32_e32 v1, 0x48, v68
	s_delay_alu instid0(VALU_DEP_1) | instskip(NEXT) | instid1(VALU_DEP_1)
	.loc	1 171 69 is_stmt 0              ; attention_bwd.py:171:69
	v_mul_lo_u32 v1, s23, v1
	.loc	1 204 50 is_stmt 1              ; attention_bwd.py:204:50
	v_ashrrev_i32_e32 v2, 31, v1
	s_delay_alu instid0(VALU_DEP_1) | instskip(NEXT) | instid1(VALU_DEP_1)
	v_lshlrev_b64 v[5:6], 1, v[1:2]
	v_add_co_u32 v1, vcc_lo, v3, v5
	s_delay_alu instid0(VALU_DEP_1) | instskip(SKIP_2) | instid1(VALU_DEP_1)
	v_add_co_ci_u32_e64 v2, null, v4, v6, vcc_lo
	.loc	1 205 22                        ; attention_bwd.py:205:22
	global_store_b16 v[1:2], v25, off
	.loc	1 171 58                        ; attention_bwd.py:171:58
	v_or_b32_e32 v1, 0x4a, v68
	.loc	1 171 69 is_stmt 0              ; attention_bwd.py:171:69
	v_mul_lo_u32 v1, s23, v1
	s_delay_alu instid0(VALU_DEP_1) | instskip(NEXT) | instid1(VALU_DEP_1)
	.loc	1 204 50 is_stmt 1              ; attention_bwd.py:204:50
	v_ashrrev_i32_e32 v2, 31, v1
	v_lshlrev_b64 v[7:8], 1, v[1:2]
	scratch_store_b64 off, v[5:6], off offset:776 ; 8-byte Folded Spill
	v_add_co_u32 v1, vcc_lo, v3, v7
	s_delay_alu instid0(VALU_DEP_1) | instskip(SKIP_2) | instid1(VALU_DEP_1)
	v_add_co_ci_u32_e64 v2, null, v4, v8, vcc_lo
	.loc	1 205 22                        ; attention_bwd.py:205:22
	global_store_b16 v[1:2], v26, off
	.loc	1 171 58                        ; attention_bwd.py:171:58
	v_or_b32_e32 v1, 0x4c, v68
	.loc	1 171 69 is_stmt 0              ; attention_bwd.py:171:69
	v_mul_lo_u32 v1, s23, v1
	s_delay_alu instid0(VALU_DEP_1) | instskip(NEXT) | instid1(VALU_DEP_1)
	.loc	1 204 50 is_stmt 1              ; attention_bwd.py:204:50
	v_ashrrev_i32_e32 v2, 31, v1
	v_lshlrev_b64 v[9:10], 1, v[1:2]
	scratch_store_b64 off, v[7:8], off offset:784 ; 8-byte Folded Spill
	v_add_co_u32 v1, vcc_lo, v3, v9
	s_delay_alu instid0(VALU_DEP_1) | instskip(SKIP_2) | instid1(VALU_DEP_1)
	v_add_co_ci_u32_e64 v2, null, v4, v10, vcc_lo
	.loc	1 205 22                        ; attention_bwd.py:205:22
	global_store_b16 v[1:2], v27, off
	.loc	1 171 58                        ; attention_bwd.py:171:58
	v_or_b32_e32 v1, 0x4e, v68
	.loc	1 171 69 is_stmt 0              ; attention_bwd.py:171:69
	v_mul_lo_u32 v1, s23, v1
	s_delay_alu instid0(VALU_DEP_1) | instskip(NEXT) | instid1(VALU_DEP_1)
	.loc	1 204 50 is_stmt 1              ; attention_bwd.py:204:50
	v_ashrrev_i32_e32 v2, 31, v1
	v_lshlrev_b64 v[11:12], 1, v[1:2]
	s_clause 0x1                            ; 16-byte Folded Spill
	scratch_store_b64 off, v[9:10], off offset:792
	scratch_store_b64 off, v[11:12], off offset:800
	v_add_co_u32 v1, vcc_lo, v3, v11
	s_delay_alu instid0(VALU_DEP_1) | instskip(SKIP_2) | instid1(VALU_DEP_1)
	v_add_co_ci_u32_e64 v2, null, v4, v12, vcc_lo
	.loc	1 205 22                        ; attention_bwd.py:205:22
	global_store_b16 v[1:2], v28, off
	.loc	1 171 58                        ; attention_bwd.py:171:58
	v_or_b32_e32 v1, 0x60, v68
	.loc	1 171 69 is_stmt 0              ; attention_bwd.py:171:69
	v_mul_lo_u32 v1, s23, v1
	s_delay_alu instid0(VALU_DEP_1) | instskip(NEXT) | instid1(VALU_DEP_1)
	.loc	1 204 50 is_stmt 1              ; attention_bwd.py:204:50
	v_ashrrev_i32_e32 v2, 31, v1
	v_lshlrev_b64 v[13:14], 1, v[1:2]
	s_delay_alu instid0(VALU_DEP_1) | instskip(NEXT) | instid1(VALU_DEP_1)
	v_add_co_u32 v1, vcc_lo, v3, v13
	v_add_co_ci_u32_e64 v2, null, v4, v14, vcc_lo
	.loc	1 205 22                        ; attention_bwd.py:205:22
	global_store_b16 v[1:2], v29, off
	.loc	1 171 58                        ; attention_bwd.py:171:58
	v_or_b32_e32 v1, 0x62, v68
	s_delay_alu instid0(VALU_DEP_1) | instskip(NEXT) | instid1(VALU_DEP_1)
	.loc	1 171 69 is_stmt 0              ; attention_bwd.py:171:69
	v_mul_lo_u32 v1, s23, v1
	.loc	1 204 50 is_stmt 1              ; attention_bwd.py:204:50
	v_ashrrev_i32_e32 v2, 31, v1
	s_delay_alu instid0(VALU_DEP_1) | instskip(SKIP_2) | instid1(VALU_DEP_1)
	v_lshlrev_b64 v[15:16], 1, v[1:2]
	scratch_store_b64 off, v[13:14], off offset:808 ; 8-byte Folded Spill
	v_add_co_u32 v1, vcc_lo, v3, v15
	v_add_co_ci_u32_e64 v2, null, v4, v16, vcc_lo
	.loc	1 205 22                        ; attention_bwd.py:205:22
	global_store_b16 v[1:2], v30, off
	.loc	1 171 58                        ; attention_bwd.py:171:58
	v_or_b32_e32 v1, 0x64, v68
	s_delay_alu instid0(VALU_DEP_1) | instskip(NEXT) | instid1(VALU_DEP_1)
	.loc	1 171 69 is_stmt 0              ; attention_bwd.py:171:69
	v_mul_lo_u32 v1, s23, v1
	.loc	1 204 50 is_stmt 1              ; attention_bwd.py:204:50
	v_ashrrev_i32_e32 v2, 31, v1
	s_delay_alu instid0(VALU_DEP_1) | instskip(SKIP_2) | instid1(VALU_DEP_1)
	v_lshlrev_b64 v[17:18], 1, v[1:2]
	scratch_store_b64 off, v[15:16], off offset:816 ; 8-byte Folded Spill
	v_add_co_u32 v1, vcc_lo, v3, v17
	v_add_co_ci_u32_e64 v2, null, v4, v18, vcc_lo
	.loc	1 205 22                        ; attention_bwd.py:205:22
	global_store_b16 v[1:2], v31, off
	.loc	1 171 58                        ; attention_bwd.py:171:58
	v_or_b32_e32 v1, 0x66, v68
	s_delay_alu instid0(VALU_DEP_1) | instskip(NEXT) | instid1(VALU_DEP_1)
	.loc	1 171 69 is_stmt 0              ; attention_bwd.py:171:69
	v_mul_lo_u32 v1, s23, v1
	.loc	1 204 50 is_stmt 1              ; attention_bwd.py:204:50
	v_ashrrev_i32_e32 v2, 31, v1
	s_delay_alu instid0(VALU_DEP_1) | instskip(SKIP_4) | instid1(VALU_DEP_1)
	v_lshlrev_b64 v[19:20], 1, v[1:2]
	s_clause 0x1                            ; 16-byte Folded Spill
	scratch_store_b64 off, v[17:18], off offset:824
	scratch_store_b64 off, v[19:20], off offset:832
	v_add_co_u32 v1, vcc_lo, v3, v19
	v_add_co_ci_u32_e64 v2, null, v4, v20, vcc_lo
	.loc	1 205 22                        ; attention_bwd.py:205:22
	global_store_b16 v[1:2], v32, off
	.loc	1 171 58                        ; attention_bwd.py:171:58
	v_or_b32_e32 v1, 0x68, v68
	s_delay_alu instid0(VALU_DEP_1) | instskip(NEXT) | instid1(VALU_DEP_1)
	.loc	1 171 69 is_stmt 0              ; attention_bwd.py:171:69
	v_mul_lo_u32 v1, s23, v1
	.loc	1 204 50 is_stmt 1              ; attention_bwd.py:204:50
	v_ashrrev_i32_e32 v2, 31, v1
	s_delay_alu instid0(VALU_DEP_1) | instskip(NEXT) | instid1(VALU_DEP_1)
	v_lshlrev_b64 v[21:22], 1, v[1:2]
	v_add_co_u32 v1, vcc_lo, v3, v21
	s_delay_alu instid0(VALU_DEP_1) | instskip(SKIP_2) | instid1(VALU_DEP_1)
	v_add_co_ci_u32_e64 v2, null, v4, v22, vcc_lo
	.loc	1 205 22                        ; attention_bwd.py:205:22
	global_store_b16 v[1:2], v33, off
	.loc	1 171 58                        ; attention_bwd.py:171:58
	v_or_b32_e32 v1, 0x6a, v68
	.loc	1 171 69 is_stmt 0              ; attention_bwd.py:171:69
	v_mul_lo_u32 v1, s23, v1
	s_delay_alu instid0(VALU_DEP_1) | instskip(NEXT) | instid1(VALU_DEP_1)
	.loc	1 204 50 is_stmt 1              ; attention_bwd.py:204:50
	v_ashrrev_i32_e32 v2, 31, v1
	v_lshlrev_b64 v[23:24], 1, v[1:2]
	scratch_store_b64 off, v[21:22], off offset:840 ; 8-byte Folded Spill
	v_add_co_u32 v1, vcc_lo, v3, v23
	s_delay_alu instid0(VALU_DEP_1) | instskip(SKIP_2) | instid1(VALU_DEP_1)
	v_add_co_ci_u32_e64 v2, null, v4, v24, vcc_lo
	.loc	1 205 22                        ; attention_bwd.py:205:22
	global_store_b16 v[1:2], v34, off
	.loc	1 171 58                        ; attention_bwd.py:171:58
	v_or_b32_e32 v1, 0x6c, v68
	.loc	1 171 69 is_stmt 0              ; attention_bwd.py:171:69
	v_mul_lo_u32 v1, s23, v1
	s_delay_alu instid0(VALU_DEP_1) | instskip(NEXT) | instid1(VALU_DEP_1)
	.loc	1 204 50 is_stmt 1              ; attention_bwd.py:204:50
	v_ashrrev_i32_e32 v2, 31, v1
	v_lshlrev_b64 v[27:28], 1, v[1:2]
	s_delay_alu instid0(VALU_DEP_1) | instskip(NEXT) | instid1(VALU_DEP_1)
	v_add_co_u32 v1, vcc_lo, v3, v27
	v_add_co_ci_u32_e64 v2, null, v4, v28, vcc_lo
	.loc	1 205 22                        ; attention_bwd.py:205:22
	global_store_b16 v[1:2], v35, off
	.loc	1 171 58                        ; attention_bwd.py:171:58
	v_or_b32_e32 v1, 0x6e, v68
	s_delay_alu instid0(VALU_DEP_1) | instskip(NEXT) | instid1(VALU_DEP_1)
	.loc	1 171 69 is_stmt 0              ; attention_bwd.py:171:69
	v_mul_lo_u32 v1, s23, v1
	.loc	1 204 50 is_stmt 1              ; attention_bwd.py:204:50
	v_ashrrev_i32_e32 v2, 31, v1
	s_delay_alu instid0(VALU_DEP_1)
	v_lshlrev_b64 v[25:26], 1, v[1:2]
	s_clause 0x2                            ; 24-byte Folded Spill
	scratch_store_b64 off, v[23:24], off offset:848
	scratch_store_b64 off, v[27:28], off offset:864
	;; [unrolled: 1-line block ×3, first 2 shown]
	v_add_co_u32 v1, vcc_lo, v3, v25
	s_delay_alu instid0(VALU_DEP_1) | instskip(SKIP_2) | instid1(VALU_DEP_1)
	v_add_co_ci_u32_e64 v2, null, v4, v26, vcc_lo
	.loc	1 205 22                        ; attention_bwd.py:205:22
	global_store_b16 v[1:2], v0, off
	.loc	1 209 19                        ; attention_bwd.py:209:19
	v_add_co_u32 v2, vcc_lo, s0, v236
	v_add_co_ci_u32_e64 v3, null, s1, v237, vcc_lo
	s_delay_alu instid0(VALU_DEP_2) | instskip(NEXT) | instid1(VALU_DEP_1)
	.loc	1 209 50 is_stmt 0              ; attention_bwd.py:209:50
	v_add_co_u32 v0, vcc_lo, v2, v149
	v_add_co_ci_u32_e64 v1, null, v3, v150, vcc_lo
	.loc	1 210 22 is_stmt 1              ; attention_bwd.py:210:22
	global_store_b16 v[0:1], v36, off
	.loc	1 209 50                        ; attention_bwd.py:209:50
	v_add_co_u32 v0, vcc_lo, v2, v247
	s_delay_alu instid0(VALU_DEP_1) | instskip(SKIP_2) | instid1(VALU_DEP_1)
	v_add_co_ci_u32_e64 v1, null, v3, v248, vcc_lo
	.loc	1 210 22                        ; attention_bwd.py:210:22
	global_store_b16 v[0:1], v37, off
	.loc	1 209 50                        ; attention_bwd.py:209:50
	v_add_co_u32 v0, vcc_lo, v2, v69
	v_add_co_ci_u32_e64 v1, null, v3, v70, vcc_lo
	.loc	1 210 22                        ; attention_bwd.py:210:22
	global_store_b16 v[0:1], v38, off
	.loc	1 209 50                        ; attention_bwd.py:209:50
	v_add_co_u32 v0, vcc_lo, v2, v71
	s_delay_alu instid0(VALU_DEP_1) | instskip(SKIP_3) | instid1(VALU_DEP_1)
	v_add_co_ci_u32_e64 v1, null, v3, v72, vcc_lo
	scratch_load_b64 v[70:71], off, off offset:1988 ; 8-byte Folded Reload
	.loc	1 210 22                        ; attention_bwd.py:210:22
	global_store_b16 v[0:1], v39, off
	.loc	1 209 50                        ; attention_bwd.py:209:50
	v_add_co_u32 v0, vcc_lo, v2, v73
	v_add_co_ci_u32_e64 v1, null, v3, v74, vcc_lo
	scratch_load_b64 v[72:73], off, off offset:1980 ; 8-byte Folded Reload
	.loc	1 210 22                        ; attention_bwd.py:210:22
	global_store_b16 v[0:1], v40, off
	.loc	1 209 50                        ; attention_bwd.py:209:50
	v_add_co_u32 v0, vcc_lo, v2, v75
	s_delay_alu instid0(VALU_DEP_1) | instskip(SKIP_3) | instid1(VALU_DEP_1)
	v_add_co_ci_u32_e64 v1, null, v3, v76, vcc_lo
	scratch_load_b64 v[74:75], off, off offset:1972 ; 8-byte Folded Reload
	.loc	1 210 22                        ; attention_bwd.py:210:22
	global_store_b16 v[0:1], v41, off
	.loc	1 209 50                        ; attention_bwd.py:209:50
	v_add_co_u32 v0, vcc_lo, v2, v77
	v_add_co_ci_u32_e64 v1, null, v3, v78, vcc_lo
	scratch_load_b64 v[76:77], off, off offset:1964 ; 8-byte Folded Reload
	.loc	1 210 22                        ; attention_bwd.py:210:22
	global_store_b16 v[0:1], v42, off
	.loc	1 209 50                        ; attention_bwd.py:209:50
	v_add_co_u32 v0, vcc_lo, v2, v79
	s_delay_alu instid0(VALU_DEP_1)
	v_add_co_ci_u32_e64 v1, null, v3, v80, vcc_lo
	s_clause 0x1                            ; 16-byte Folded Reload
	scratch_load_b64 v[78:79], off, off offset:2096
	scratch_load_b64 v[68:69], off, off offset:1996
	.loc	1 210 22                        ; attention_bwd.py:210:22
	global_store_b16 v[0:1], v43, off
	.loc	1 209 50                        ; attention_bwd.py:209:50
	v_add_co_u32 v0, vcc_lo, v2, v81
	s_delay_alu instid0(VALU_DEP_1) | instskip(SKIP_2) | instid1(VALU_DEP_1)
	v_add_co_ci_u32_e64 v1, null, v3, v82, vcc_lo
	.loc	1 210 22                        ; attention_bwd.py:210:22
	global_store_b16 v[0:1], v44, off
	.loc	1 209 50                        ; attention_bwd.py:209:50
	v_add_co_u32 v0, vcc_lo, v2, v83
	v_add_co_ci_u32_e64 v1, null, v3, v84, vcc_lo
	scratch_load_b64 v[82:83], off, off offset:2128 ; 8-byte Folded Reload
	.loc	1 210 22                        ; attention_bwd.py:210:22
	global_store_b16 v[0:1], v45, off
	.loc	1 209 50                        ; attention_bwd.py:209:50
	v_add_co_u32 v0, vcc_lo, v2, v85
	s_delay_alu instid0(VALU_DEP_1)
	v_add_co_ci_u32_e64 v1, null, v3, v86, vcc_lo
	s_clause 0x1                            ; 16-byte Folded Reload
	scratch_load_b64 v[84:85], off, off offset:2140
	scratch_load_b64 v[80:81], off, off offset:2104
	.loc	1 210 22                        ; attention_bwd.py:210:22
	global_store_b16 v[0:1], v46, off
	.loc	1 209 50                        ; attention_bwd.py:209:50
	v_add_co_u32 v0, vcc_lo, v2, v87
	s_delay_alu instid0(VALU_DEP_1) | instskip(SKIP_3) | instid1(VALU_DEP_1)
	v_add_co_ci_u32_e64 v1, null, v3, v88, vcc_lo
	scratch_load_b64 v[86:87], off, off offset:2148 ; 8-byte Folded Reload
	.loc	1 210 22                        ; attention_bwd.py:210:22
	global_store_b16 v[0:1], v47, off
	.loc	1 209 50                        ; attention_bwd.py:209:50
	v_add_co_u32 v0, vcc_lo, v2, v89
	v_add_co_ci_u32_e64 v1, null, v3, v90, vcc_lo
	scratch_load_b64 v[88:89], off, off offset:2156 ; 8-byte Folded Reload
	.loc	1 210 22                        ; attention_bwd.py:210:22
	global_store_b16 v[0:1], v48, off
	.loc	1 209 50                        ; attention_bwd.py:209:50
	v_add_co_u32 v0, vcc_lo, v2, v91
	s_delay_alu instid0(VALU_DEP_1) | instskip(SKIP_3) | instid1(VALU_DEP_1)
	v_add_co_ci_u32_e64 v1, null, v3, v92, vcc_lo
	scratch_load_b64 v[90:91], off, off offset:2220 ; 8-byte Folded Reload
	.loc	1 210 22                        ; attention_bwd.py:210:22
	global_store_b16 v[0:1], v49, off
	.loc	1 209 50                        ; attention_bwd.py:209:50
	v_add_co_u32 v0, vcc_lo, v2, v147
	v_add_co_ci_u32_e64 v1, null, v3, v148, vcc_lo
	.loc	1 210 22                        ; attention_bwd.py:210:22
	global_store_b16 v[0:1], v50, off
	.loc	1 209 50                        ; attention_bwd.py:209:50
	v_add_co_u32 v0, vcc_lo, v2, v93
	s_delay_alu instid0(VALU_DEP_1) | instskip(SKIP_3) | instid1(VALU_DEP_1)
	v_add_co_ci_u32_e64 v1, null, v3, v94, vcc_lo
	scratch_load_b64 v[92:93], off, off offset:2240 ; 8-byte Folded Reload
	.loc	1 210 22                        ; attention_bwd.py:210:22
	global_store_b16 v[0:1], v51, off
	.loc	1 209 50                        ; attention_bwd.py:209:50
	v_add_co_u32 v0, vcc_lo, v2, v95
	v_add_co_ci_u32_e64 v1, null, v3, v96, vcc_lo
	s_clause 0x1                            ; 16-byte Folded Reload
	scratch_load_b64 v[94:95], off, off offset:2248
	scratch_load_b64 v[96:97], off, off offset:2256
	.loc	1 210 22                        ; attention_bwd.py:210:22
	global_store_b16 v[0:1], v52, off
	.loc	1 209 50                        ; attention_bwd.py:209:50
	v_add_co_u32 v0, vcc_lo, v2, v249
	s_delay_alu instid0(VALU_DEP_1) | instskip(SKIP_2) | instid1(VALU_DEP_1)
	v_add_co_ci_u32_e64 v1, null, v3, v250, vcc_lo
	.loc	1 210 22                        ; attention_bwd.py:210:22
	global_store_b16 v[0:1], v53, off
	.loc	1 209 50                        ; attention_bwd.py:209:50
	v_add_co_u32 v0, vcc_lo, v2, v251
	v_add_co_ci_u32_e64 v1, null, v3, v252, vcc_lo
	.loc	1 210 22                        ; attention_bwd.py:210:22
	global_store_b16 v[0:1], v54, off
	.loc	1 209 50                        ; attention_bwd.py:209:50
	v_add_co_u32 v0, vcc_lo, v2, v253
	s_delay_alu instid0(VALU_DEP_1) | instskip(SKIP_2) | instid1(VALU_DEP_1)
	v_add_co_ci_u32_e64 v1, null, v3, v254, vcc_lo
	.loc	1 210 22                        ; attention_bwd.py:210:22
	global_store_b16 v[0:1], v55, off
	.loc	1 209 50                        ; attention_bwd.py:209:50
	v_add_co_u32 v0, vcc_lo, v2, v5
	v_add_co_ci_u32_e64 v1, null, v3, v6, vcc_lo
	;; [unrolled: 11-line block ×7, first 2 shown]
	scratch_load_b64 v[64:65], off, off offset:1956 ; 8-byte Folded Reload
	.loc	1 210 22                        ; attention_bwd.py:210:22
	global_store_b16 v[0:1], v66, off
	.loc	1 209 50                        ; attention_bwd.py:209:50
	v_add_co_u32 v0, vcc_lo, v2, v25
	s_delay_alu instid0(VALU_DEP_1) | instskip(SKIP_4) | instid1(VALU_DEP_1)
	v_add_co_ci_u32_e64 v1, null, v3, v26, vcc_lo
	.loc	1 210 22                        ; attention_bwd.py:210:22
	global_store_b16 v[0:1], v67, off
	scratch_load_b64 v[66:67], off, off offset:2004 ; 8-byte Folded Reload
	.loc	1 220 20                        ; attention_bwd.py:220:20
	s_waitcnt vmcnt(1)
	v_add_co_u32 v0, vcc_lo, s40, v64
	v_add_co_ci_u32_e64 v1, null, s41, v65, vcc_lo
	s_delay_alu instid0(VALU_DEP_2) | instskip(NEXT) | instid1(VALU_DEP_1)
	.loc	1 220 51 is_stmt 0              ; attention_bwd.py:220:51
	v_add_co_u32 v0, vcc_lo, v0, v131
	v_add_co_ci_u32_e64 v1, null, v1, v132, vcc_lo
	.loc	1 220 20                        ; attention_bwd.py:220:20
	s_waitcnt vmcnt(0)
	v_add_co_u32 v2, vcc_lo, s40, v66
	s_delay_alu instid0(VALU_DEP_1) | instskip(NEXT) | instid1(VALU_DEP_2)
	v_add_co_ci_u32_e64 v3, null, s41, v67, vcc_lo
	.loc	1 220 51                        ; attention_bwd.py:220:51
	v_add_co_u32 v2, vcc_lo, v2, v131
	s_delay_alu instid0(VALU_DEP_1) | instskip(SKIP_1) | instid1(VALU_DEP_1)
	v_add_co_ci_u32_e64 v3, null, v3, v132, vcc_lo
	.loc	1 220 20                        ; attention_bwd.py:220:20
	v_add_co_u32 v4, vcc_lo, s40, v68
	v_add_co_ci_u32_e64 v5, null, s41, v69, vcc_lo
	s_delay_alu instid0(VALU_DEP_2) | instskip(NEXT) | instid1(VALU_DEP_1)
	.loc	1 220 51                        ; attention_bwd.py:220:51
	v_add_co_u32 v4, vcc_lo, v4, v131
	v_add_co_ci_u32_e64 v5, null, v5, v132, vcc_lo
	.loc	1 220 20                        ; attention_bwd.py:220:20
	v_add_co_u32 v6, vcc_lo, s40, v70
	s_delay_alu instid0(VALU_DEP_1) | instskip(NEXT) | instid1(VALU_DEP_2)
	v_add_co_ci_u32_e64 v7, null, s41, v71, vcc_lo
	.loc	1 220 51                        ; attention_bwd.py:220:51
	v_add_co_u32 v6, vcc_lo, v6, v131
	s_delay_alu instid0(VALU_DEP_1) | instskip(SKIP_1) | instid1(VALU_DEP_1)
	v_add_co_ci_u32_e64 v7, null, v7, v132, vcc_lo
	.loc	1 220 20                        ; attention_bwd.py:220:20
	v_add_co_u32 v8, vcc_lo, s40, v72
	v_add_co_ci_u32_e64 v9, null, s41, v73, vcc_lo
	s_delay_alu instid0(VALU_DEP_2) | instskip(NEXT) | instid1(VALU_DEP_1)
	.loc	1 220 51                        ; attention_bwd.py:220:51
	v_add_co_u32 v8, vcc_lo, v8, v131
	v_add_co_ci_u32_e64 v9, null, v9, v132, vcc_lo
	.loc	1 220 20                        ; attention_bwd.py:220:20
	;; [unrolled: 15-line block ×15, first 2 shown]
	v_add_co_u32 v62, vcc_lo, s40, v145
	s_delay_alu instid0(VALU_DEP_1) | instskip(NEXT) | instid1(VALU_DEP_2)
	v_add_co_ci_u32_e64 v63, null, s41, v146, vcc_lo
	.loc	1 220 51                        ; attention_bwd.py:220:51
	v_add_co_u32 v62, vcc_lo, v62, v131
	s_delay_alu instid0(VALU_DEP_1)
	v_add_co_ci_u32_e64 v63, null, v63, v132, vcc_lo
	.loc	1 220 16                        ; attention_bwd.py:220:16
	s_clause 0x1f
	global_load_u16 v0, v[0:1], off
	global_load_u16 v1, v[2:3], off
	;; [unrolled: 1-line block ×32, first 2 shown]
	s_clause 0x7                            ; 32-byte Folded Reload
	scratch_load_b32 v32, off, off offset:2432
	scratch_load_b32 v39, off, off offset:2460
	;; [unrolled: 1-line block ×8, first 2 shown]
	.loc	1 222 22 is_stmt 1              ; attention_bwd.py:222:22
	v_add_co_u32 v64, vcc_lo, s43, v64
	s_delay_alu instid0(VALU_DEP_1) | instskip(SKIP_1) | instid1(VALU_DEP_1)
	v_add_co_ci_u32_e64 v65, null, s48, v65, vcc_lo
	v_add_co_u32 v66, vcc_lo, s43, v66
	v_add_co_ci_u32_e64 v67, null, s48, v67, vcc_lo
	v_add_co_u32 v68, vcc_lo, s43, v68
	s_delay_alu instid0(VALU_DEP_1) | instskip(SKIP_1) | instid1(VALU_DEP_1)
	v_add_co_ci_u32_e64 v69, null, s48, v69, vcc_lo
	v_add_co_u32 v70, vcc_lo, s43, v70
	v_add_co_ci_u32_e64 v71, null, s48, v71, vcc_lo
	;; [unrolled: 5-line block ×16, first 2 shown]
	.loc	1 222 53 is_stmt 0              ; attention_bwd.py:222:53
	v_add_co_u32 v64, vcc_lo, v64, v131
	s_delay_alu instid0(VALU_DEP_1) | instskip(SKIP_1) | instid1(VALU_DEP_1)
	v_add_co_ci_u32_e64 v65, null, v65, v132, vcc_lo
	v_add_co_u32 v66, vcc_lo, v66, v131
	v_add_co_ci_u32_e64 v67, null, v67, v132, vcc_lo
	v_add_co_u32 v68, vcc_lo, v68, v131
	s_delay_alu instid0(VALU_DEP_1) | instskip(SKIP_1) | instid1(VALU_DEP_1)
	v_add_co_ci_u32_e64 v69, null, v69, v132, vcc_lo
	v_add_co_u32 v70, vcc_lo, v70, v131
	v_add_co_ci_u32_e64 v71, null, v71, v132, vcc_lo
	;; [unrolled: 5-line block ×16, first 2 shown]
	.loc	1 220 16 is_stmt 1              ; attention_bwd.py:220:16
	s_waitcnt vmcnt(7)
	ds_store_b16 v32, v0
	ds_store_b16 v32, v8 offset:4096
	ds_store_b16 v32, v16 offset:8192
	ds_store_b16 v32, v24 offset:12288
	s_waitcnt vmcnt(6)
	ds_store_b16 v39, v1 offset:512
	ds_store_b16 v39, v9 offset:4608
	ds_store_b16 v39, v17 offset:8704
	ds_store_b16 v39, v25 offset:12800
	s_waitcnt vmcnt(5)
	ds_store_b16 v38, v2 offset:1024
	;; [unrolled: 5-line block ×7, first 2 shown]
	ds_store_b16 v33, v15 offset:7680
	ds_store_b16 v33, v23 offset:11776
	;; [unrolled: 1-line block ×3, first 2 shown]
.Ltmp27:
	.loc	1 102 21                        ; attention_bwd.py:102:21 @[ attention_bwd.py:253:40 ]
	s_and_b32 vcc_lo, exec_lo, s2
.Ltmp28:
	.loc	1 220 16                        ; attention_bwd.py:220:16
	s_waitcnt lgkmcnt(0)
	s_waitcnt_vscnt null, 0x0
	s_barrier
	buffer_gl0_inv
	.loc	1 222 17                        ; attention_bwd.py:222:17
	s_clause 0x1f
	global_load_u16 v0, v[64:65], off
	global_load_u16 v1, v[66:67], off
	;; [unrolled: 1-line block ×32, first 2 shown]
	.loc	1 220 16                        ; attention_bwd.py:220:16
	ds_load_b128 v[88:91], v161
	ds_load_b128 v[92:95], v162
	;; [unrolled: 1-line block ×16, first 2 shown]
	.loc	1 222 17                        ; attention_bwd.py:222:17
	s_waitcnt vmcnt(0) lgkmcnt(0)
	s_barrier
	buffer_gl0_inv
	ds_store_b16 v32, v0
	ds_store_b16 v32, v8 offset:4096
	ds_store_b16 v32, v16 offset:8192
	;; [unrolled: 1-line block ×31, first 2 shown]
	s_waitcnt lgkmcnt(0)
	s_barrier
	buffer_gl0_inv
	s_clause 0x1                            ; 16-byte Folded Reload
	scratch_load_b64 v[42:43], off, off offset:2024
	scratch_load_b64 v[175:176], off, off offset:2032
	v_dual_mov_b32 v4, 0 :: v_dual_mov_b32 v5, 0
.Ltmp29:
	.loc	1 93 18                         ; attention_bwd.py:93:18 @[ attention_bwd.py:253:40 ]
	s_waitcnt vmcnt(1)
	v_add_co_u32 v0, s0, s38, v42
	s_delay_alu instid0(VALU_DEP_1)
	v_add_co_ci_u32_e64 v1, null, s39, v43, s0
	.loc	1 102 21                        ; attention_bwd.py:102:21 @[ attention_bwd.py:253:40 ]
	s_cbranch_vccnz .LBB0_80
; %bb.79:
	.loc	1 93 49                         ; attention_bwd.py:93:49 @[ attention_bwd.py:253:40 ]
	s_waitcnt vmcnt(0)
	v_add_co_u32 v2, vcc_lo, v0, v175
	s_delay_alu instid0(VALU_DEP_1)
	v_add_co_ci_u32_e64 v3, null, v1, v176, vcc_lo
	.loc	1 102 21                        ; attention_bwd.py:102:21 @[ attention_bwd.py:253:40 ]
	global_load_u16 v5, v[2:3], off
.LBB0_80:
	.loc	1 0 21 is_stmt 0                ; attention_bwd.py:0:21
	s_clause 0xc                            ; 84-byte Folded Reload
	scratch_load_b32 v235, off, off offset:1488
	scratch_load_b32 v159, off, off offset:1492
	scratch_load_b32 v39, off, off
	scratch_load_b32 v40, off, off offset:68
	scratch_load_b32 v41, off, off offset:72
	scratch_load_b64 v[46:47], off, off offset:2040
	scratch_load_b64 v[48:49], off, off offset:2048
	scratch_load_b64 v[62:63], off, off offset:2056
	scratch_load_b64 v[64:65], off, off offset:2064
	scratch_load_b64 v[66:67], off, off offset:2072
	scratch_load_b64 v[68:69], off, off offset:2080
	scratch_load_b64 v[70:71], off, off offset:2088
	scratch_load_b64 v[60:61], off, off offset:2120
	.loc	1 102 21                        ; attention_bwd.py:102:21 @[ attention_bwd.py:253:40 ]
	s_and_b32 vcc_lo, exec_lo, s2
	s_cbranch_vccnz .LBB0_82
; %bb.81:
	.loc	1 93 49 is_stmt 1               ; attention_bwd.py:93:49 @[ attention_bwd.py:253:40 ]
	s_waitcnt vmcnt(7)
	v_add_co_u32 v2, vcc_lo, v0, v46
	s_delay_alu instid0(VALU_DEP_1)
	v_add_co_ci_u32_e64 v3, null, v1, v47, vcc_lo
	.loc	1 102 21                        ; attention_bwd.py:102:21 @[ attention_bwd.py:253:40 ]
	global_load_u16 v4, v[2:3], off
.LBB0_82:
	.loc	1 0 21 is_stmt 0                ; attention_bwd.py:0:21
	v_dual_mov_b32 v6, 0 :: v_dual_mov_b32 v7, 0
	v_dual_mov_b32 v143, v151 :: v_dual_mov_b32 v144, v152
	;; [unrolled: 1-line block ×3, first 2 shown]
	.loc	1 102 21                        ; attention_bwd.py:102:21 @[ attention_bwd.py:253:40 ]
	s_and_b32 vcc_lo, exec_lo, s2
	s_cbranch_vccz .LBB0_133
; %bb.83:
	s_and_b32 vcc_lo, exec_lo, s2
	s_cbranch_vccz .LBB0_134
.LBB0_84:
	.loc	1 0 21                          ; attention_bwd.py:0:21
	v_dual_mov_b32 v8, 0 :: v_dual_mov_b32 v9, 0
	.loc	1 102 21                        ; attention_bwd.py:102:21 @[ attention_bwd.py:253:40 ]
	s_and_b32 vcc_lo, exec_lo, s2
	s_cbranch_vccz .LBB0_135
.LBB0_85:
	s_and_b32 vcc_lo, exec_lo, s2
	s_cbranch_vccz .LBB0_136
.LBB0_86:
	.loc	1 0 21                          ; attention_bwd.py:0:21
	v_dual_mov_b32 v10, 0 :: v_dual_mov_b32 v11, 0
	.loc	1 102 21                        ; attention_bwd.py:102:21 @[ attention_bwd.py:253:40 ]
	s_and_b32 vcc_lo, exec_lo, s2
	s_cbranch_vccz .LBB0_137
.LBB0_87:
	s_and_b32 vcc_lo, exec_lo, s2
	s_cbranch_vccz .LBB0_138
.LBB0_88:
	.loc	1 0 21                          ; attention_bwd.py:0:21
	v_dual_mov_b32 v12, 0 :: v_dual_mov_b32 v13, 0
	.loc	1 102 21                        ; attention_bwd.py:102:21 @[ attention_bwd.py:253:40 ]
	s_and_b32 vcc_lo, exec_lo, s2
	s_cbranch_vccz .LBB0_139
.LBB0_89:
	s_and_b32 vcc_lo, exec_lo, s2
	s_cbranch_vccz .LBB0_140
.LBB0_90:
	.loc	1 0 21                          ; attention_bwd.py:0:21
	v_dual_mov_b32 v14, 0 :: v_dual_mov_b32 v15, 0
	.loc	1 102 21                        ; attention_bwd.py:102:21 @[ attention_bwd.py:253:40 ]
	s_and_b32 vcc_lo, exec_lo, s2
	s_cbranch_vccz .LBB0_141
.LBB0_91:
	s_and_b32 vcc_lo, exec_lo, s2
	s_cbranch_vccz .LBB0_142
.LBB0_92:
	.loc	1 0 21                          ; attention_bwd.py:0:21
	v_dual_mov_b32 v16, 0 :: v_dual_mov_b32 v17, 0
	.loc	1 102 21                        ; attention_bwd.py:102:21 @[ attention_bwd.py:253:40 ]
	s_and_b32 vcc_lo, exec_lo, s2
	s_cbranch_vccz .LBB0_143
.LBB0_93:
	s_and_b32 vcc_lo, exec_lo, s2
	s_cbranch_vccz .LBB0_144
.LBB0_94:
	.loc	1 0 21                          ; attention_bwd.py:0:21
	v_dual_mov_b32 v18, 0 :: v_dual_mov_b32 v19, 0
	.loc	1 102 21                        ; attention_bwd.py:102:21 @[ attention_bwd.py:253:40 ]
	s_and_b32 vcc_lo, exec_lo, s2
	s_cbranch_vccz .LBB0_145
.LBB0_95:
	s_and_b32 vcc_lo, exec_lo, s2
	s_cbranch_vccnz .LBB0_97
.LBB0_96:
	.loc	1 93 49 is_stmt 1               ; attention_bwd.py:93:49 @[ attention_bwd.py:253:40 ]
	v_add_co_u32 v0, vcc_lo, v0, v189
	s_delay_alu instid0(VALU_DEP_1)
	v_add_co_ci_u32_e64 v1, null, v1, v190, vcc_lo
	.loc	1 102 21                        ; attention_bwd.py:102:21 @[ attention_bwd.py:253:40 ]
	global_load_u16 v18, v[0:1], off
.LBB0_97:
	.loc	1 94 18                         ; attention_bwd.py:94:18 @[ attention_bwd.py:253:40 ]
	v_add_co_u32 v27, vcc_lo, s36, v42
	s_delay_alu instid0(VALU_DEP_1)
	v_add_co_ci_u32_e64 v28, null, s37, v43, vcc_lo
	v_dual_mov_b32 v20, 0 :: v_dual_mov_b32 v21, 0
	.loc	1 103 21                        ; attention_bwd.py:103:21 @[ attention_bwd.py:253:40 ]
	s_and_b32 vcc_lo, exec_lo, s2
	s_cbranch_vccz .LBB0_146
; %bb.98:
	s_and_b32 vcc_lo, exec_lo, s2
	s_cbranch_vccz .LBB0_147
.LBB0_99:
	.loc	1 0 21 is_stmt 0                ; attention_bwd.py:0:21
	v_dual_mov_b32 v22, 0 :: v_dual_mov_b32 v23, 0
	.loc	1 103 21                        ; attention_bwd.py:103:21 @[ attention_bwd.py:253:40 ]
	s_and_b32 vcc_lo, exec_lo, s2
	s_cbranch_vccz .LBB0_148
.LBB0_100:
	s_and_b32 vcc_lo, exec_lo, s2
	s_cbranch_vccz .LBB0_149
.LBB0_101:
	.loc	1 0 21                          ; attention_bwd.py:0:21
	v_dual_mov_b32 v24, 0 :: v_dual_mov_b32 v25, 0
	.loc	1 103 21                        ; attention_bwd.py:103:21 @[ attention_bwd.py:253:40 ]
	s_and_b32 vcc_lo, exec_lo, s2
	s_cbranch_vccz .LBB0_150
.LBB0_102:
	s_and_b32 vcc_lo, exec_lo, s2
	s_cbranch_vccz .LBB0_151
.LBB0_103:
	.loc	1 0 21                          ; attention_bwd.py:0:21
	v_dual_mov_b32 v26, 0 :: v_dual_mov_b32 v29, 0
	.loc	1 103 21                        ; attention_bwd.py:103:21 @[ attention_bwd.py:253:40 ]
	s_and_b32 vcc_lo, exec_lo, s2
	s_cbranch_vccz .LBB0_152
.LBB0_104:
	s_and_b32 vcc_lo, exec_lo, s2
	s_cbranch_vccnz .LBB0_106
.LBB0_105:
	.loc	1 94 49 is_stmt 1               ; attention_bwd.py:94:49 @[ attention_bwd.py:253:40 ]
	s_waitcnt vmcnt(1)
	v_add_co_u32 v0, vcc_lo, v27, v70
	s_delay_alu instid0(VALU_DEP_1)
	v_add_co_ci_u32_e64 v1, null, v28, v71, vcc_lo
	.loc	1 103 21                        ; attention_bwd.py:103:21 @[ attention_bwd.py:253:40 ]
	global_load_u16 v26, v[0:1], off
.LBB0_106:
	.loc	1 0 21 is_stmt 0                ; attention_bwd.py:0:21
	scratch_load_b32 v0, off, off offset:2020 ; 4-byte Folded Reload
	v_dual_mov_b32 v30, 0 :: v_dual_mov_b32 v31, 0
	.loc	1 103 21                        ; attention_bwd.py:103:21 @[ attention_bwd.py:253:40 ]
	s_and_b32 vcc_lo, exec_lo, s2
	s_waitcnt vmcnt(0)
	v_lshrrev_b32_e32 v0, 1, v0
	s_cbranch_vccnz .LBB0_108
; %bb.107:
	.loc	1 94 49 is_stmt 1               ; attention_bwd.py:94:49 @[ attention_bwd.py:253:40 ]
	v_add_co_u32 v1, vcc_lo, v27, v60
	s_delay_alu instid0(VALU_DEP_1)
	v_add_co_ci_u32_e64 v2, null, v28, v61, vcc_lo
	.loc	1 103 21                        ; attention_bwd.py:103:21 @[ attention_bwd.py:253:40 ]
	global_load_u16 v31, v[1:2], off
.LBB0_108:
	.loc	1 0 21 is_stmt 0                ; attention_bwd.py:0:21
	s_delay_alu instid0(VALU_DEP_1)
	v_or3_b32 v0, v160, v0, s33
	.loc	1 103 21                        ; attention_bwd.py:103:21 @[ attention_bwd.py:253:40 ]
	s_and_b32 vcc_lo, exec_lo, s2
	s_cbranch_vccnz .LBB0_110
; %bb.109:
	.loc	1 94 49 is_stmt 1               ; attention_bwd.py:94:49 @[ attention_bwd.py:253:40 ]
	v_add_co_u32 v1, vcc_lo, v27, v177
	s_delay_alu instid0(VALU_DEP_1)
	v_add_co_ci_u32_e64 v2, null, v28, v178, vcc_lo
	.loc	1 103 21                        ; attention_bwd.py:103:21 @[ attention_bwd.py:253:40 ]
	global_load_u16 v30, v[1:2], off
.LBB0_110:
	.loc	1 0 21 is_stmt 0                ; attention_bwd.py:0:21
	s_delay_alu instid0(VALU_DEP_1)
	v_ashrrev_i32_e32 v1, 31, v0
	v_dual_mov_b32 v32, 0 :: v_dual_mov_b32 v33, 0
	.loc	1 103 21                        ; attention_bwd.py:103:21 @[ attention_bwd.py:253:40 ]
	s_and_b32 vcc_lo, exec_lo, s2
	s_cbranch_vccnz .LBB0_112
; %bb.111:
	.loc	1 94 49 is_stmt 1               ; attention_bwd.py:94:49 @[ attention_bwd.py:253:40 ]
	v_add_co_u32 v2, vcc_lo, v27, v179
	s_delay_alu instid0(VALU_DEP_1)
	v_add_co_ci_u32_e64 v3, null, v28, v180, vcc_lo
	.loc	1 103 21                        ; attention_bwd.py:103:21 @[ attention_bwd.py:253:40 ]
	global_load_u16 v33, v[2:3], off
.LBB0_112:
	s_and_b32 vcc_lo, exec_lo, s2
	s_cbranch_vccnz .LBB0_114
; %bb.113:
	.loc	1 94 49                         ; attention_bwd.py:94:49 @[ attention_bwd.py:253:40 ]
	v_add_co_u32 v2, vcc_lo, v27, v181
	s_delay_alu instid0(VALU_DEP_1)
	v_add_co_ci_u32_e64 v3, null, v28, v182, vcc_lo
	.loc	1 103 21                        ; attention_bwd.py:103:21 @[ attention_bwd.py:253:40 ]
	global_load_u16 v32, v[2:3], off
.LBB0_114:
	.loc	1 0 21 is_stmt 0                ; attention_bwd.py:0:21
	v_lshlrev_b64 v[0:1], 2, v[0:1]
	v_dual_mov_b32 v34, 0 :: v_dual_mov_b32 v35, 0
	.loc	1 103 21                        ; attention_bwd.py:103:21 @[ attention_bwd.py:253:40 ]
	s_and_b32 vcc_lo, exec_lo, s2
	s_cbranch_vccnz .LBB0_116
; %bb.115:
	.loc	1 94 49 is_stmt 1               ; attention_bwd.py:94:49 @[ attention_bwd.py:253:40 ]
	v_add_co_u32 v2, vcc_lo, v27, v183
	s_delay_alu instid0(VALU_DEP_1)
	v_add_co_ci_u32_e64 v3, null, v28, v184, vcc_lo
	.loc	1 103 21                        ; attention_bwd.py:103:21 @[ attention_bwd.py:253:40 ]
	global_load_u16 v35, v[2:3], off
.LBB0_116:
	s_and_b32 vcc_lo, exec_lo, s2
	s_cbranch_vccnz .LBB0_118
; %bb.117:
	.loc	1 94 49                         ; attention_bwd.py:94:49 @[ attention_bwd.py:253:40 ]
	v_add_co_u32 v2, vcc_lo, v27, v185
	s_delay_alu instid0(VALU_DEP_1)
	v_add_co_ci_u32_e64 v3, null, v28, v186, vcc_lo
	.loc	1 103 21                        ; attention_bwd.py:103:21 @[ attention_bwd.py:253:40 ]
	global_load_u16 v34, v[2:3], off
.LBB0_118:
	.loc	1 0 21 is_stmt 0                ; attention_bwd.py:0:21
	v_add_co_u32 v2, vcc_lo, s24, v0
	s_delay_alu instid0(VALU_DEP_1)
	v_add_co_ci_u32_e64 v3, null, s25, v1, vcc_lo
	v_dual_mov_b32 v36, 0 :: v_dual_mov_b32 v37, 0
	.loc	1 103 21                        ; attention_bwd.py:103:21 @[ attention_bwd.py:253:40 ]
	s_and_b32 vcc_lo, exec_lo, s2
	s_cbranch_vccnz .LBB0_120
; %bb.119:
	.loc	1 94 49 is_stmt 1               ; attention_bwd.py:94:49 @[ attention_bwd.py:253:40 ]
	v_add_co_u32 v37, vcc_lo, v27, v187
	s_delay_alu instid0(VALU_DEP_1)
	v_add_co_ci_u32_e64 v38, null, v28, v188, vcc_lo
	.loc	1 103 21                        ; attention_bwd.py:103:21 @[ attention_bwd.py:253:40 ]
	global_load_u16 v37, v[37:38], off
.LBB0_120:
	s_and_b32 vcc_lo, exec_lo, s2
	s_clause 0x5                            ; 96-byte Folded Spill
	scratch_store_b128 off, v[88:91], off offset:456
	scratch_store_b128 off, v[92:95], off offset:472
	;; [unrolled: 1-line block ×6, first 2 shown]
	s_cbranch_vccnz .LBB0_122
; %bb.121:
	.loc	1 94 49                         ; attention_bwd.py:94:49 @[ attention_bwd.py:253:40 ]
	v_add_co_u32 v27, vcc_lo, v27, v189
	s_delay_alu instid0(VALU_DEP_1)
	v_add_co_ci_u32_e64 v28, null, v28, v190, vcc_lo
	.loc	1 103 21                        ; attention_bwd.py:103:21 @[ attention_bwd.py:253:40 ]
	global_load_u16 v36, v[27:28], off
.LBB0_122:
	.loc	1 0 21 is_stmt 0                ; attention_bwd.py:0:21
	ds_load_b128 v[151:154], v161
	ds_load_b128 v[155:158], v162
	;; [unrolled: 1-line block ×10, first 2 shown]
	.loc	1 96 21 is_stmt 1               ; attention_bwd.py:96:21 @[ attention_bwd.py:253:40 ]
	v_add_co_u32 v0, vcc_lo, s20, v0
	s_delay_alu instid0(VALU_DEP_1)
	v_add_co_ci_u32_e64 v1, null, s21, v1, vcc_lo
	global_load_b32 v113, v[2:3], off
	v_mov_b32_e32 v233, 0
	.loc	1 102 21                        ; attention_bwd.py:102:21 @[ attention_bwd.py:253:40 ]
	s_mov_b32 s36, 0
	.loc	1 96 17                         ; attention_bwd.py:96:17 @[ attention_bwd.py:253:40 ]
	global_load_b32 v114, v[0:1], off
	.loc	1 101 25                        ; attention_bwd.py:101:25 @[ attention_bwd.py:253:40 ]
	s_and_not1_b32 vcc_lo, exec_lo, s42
	s_waitcnt lgkmcnt(1)
	scratch_store_b128 off, v[87:90], off offset:520 ; 16-byte Folded Spill
	s_waitcnt lgkmcnt(0)
	scratch_store_b128 off, v[91:94], off offset:536 ; 16-byte Folded Spill
	ds_load_b128 v[119:122], v171
	ds_load_b128 v[123:126], v172
	;; [unrolled: 1-line block ×4, first 2 shown]
	v_mov_b32_e32 v232, v233
	v_mov_b32_e32 v231, v233
	;; [unrolled: 1-line block ×17, first 2 shown]
	s_waitcnt lgkmcnt(1)
	scratch_store_b128 off, v[87:90], off offset:488 ; 16-byte Folded Spill
	s_waitcnt lgkmcnt(0)
	scratch_store_b128 off, v[91:94], off offset:504 ; 16-byte Folded Spill
	ds_load_b128 v[88:91], v191
	ds_load_b128 v[92:95], v192
	v_mov_b32_e32 v192, v233
	v_mov_b32_e32 v191, v233
	.loc	1 102 21                        ; attention_bwd.py:102:21 @[ attention_bwd.py:253:40 ]
	s_waitcnt vmcnt(0) lgkmcnt(0)
	s_waitcnt_vscnt null, 0x0
	s_barrier
	buffer_gl0_inv
	ds_store_b16 v235, v5
	ds_store_b16 v235, v4 offset:512
	ds_store_b16 v235, v7 offset:1024
	ds_store_b16 v159, v6
	ds_store_b16 v235, v9 offset:2048
	ds_store_b16 v235, v8 offset:2560
	ds_store_b16 v235, v11 offset:3072
	ds_store_b16 v39, v10
	ds_store_b16 v235, v13 offset:4096
	;; [unrolled: 4-line block ×3, first 2 shown]
	ds_store_b16 v235, v16 offset:6656
	ds_store_b16 v235, v19 offset:7168
	ds_store_b16 v41, v18
	.loc	1 103 21                        ; attention_bwd.py:103:21 @[ attention_bwd.py:253:40 ]
	ds_store_b16 v235, v21 offset:8192
	ds_store_b16 v235, v20 offset:8704
	;; [unrolled: 1-line block ×16, first 2 shown]
	v_mov_b32_e32 v23, v233
	v_mov_b32_e32 v22, v233
	;; [unrolled: 1-line block ×12, first 2 shown]
	.loc	1 101 25                        ; attention_bwd.py:101:25 @[ attention_bwd.py:253:40 ]
	s_clause 0x2                            ; 24-byte Folded Spill
	scratch_store_b64 off, v[236:237], off offset:584
	scratch_store_b64 off, v[149:150], off offset:616
	;; [unrolled: 1-line block ×3, first 2 shown]
	s_cbranch_vccnz .LBB0_126
; %bb.123:                              ; %.lr.ph331
	v_add_co_u32 v0, vcc_lo, v189, v42
	s_ashr_i32 s15, s14, 31
	v_add_co_ci_u32_e64 v1, null, v190, v43, vcc_lo
	v_add_co_u32 v2, vcc_lo, v187, v42
	s_lshl_b64 s[46:47], s[14:15], 1
	v_add_co_ci_u32_e64 v3, null, v188, v43, vcc_lo
	v_add_co_u32 v0, vcc_lo, v0, s46
	s_delay_alu instid0(VALU_DEP_1) | instskip(SKIP_1) | instid1(VALU_DEP_1)
	v_add_co_ci_u32_e64 v1, null, s47, v1, vcc_lo
	v_add_co_u32 v2, vcc_lo, v2, s46
	v_add_co_ci_u32_e64 v3, null, s47, v3, vcc_lo
	s_delay_alu instid0(VALU_DEP_4) | instskip(NEXT) | instid1(VALU_DEP_1)
	v_add_co_u32 v229, vcc_lo, s12, v0
	v_add_co_ci_u32_e64 v227, null, s13, v1, vcc_lo
	s_delay_alu instid0(VALU_DEP_4) | instskip(NEXT) | instid1(VALU_DEP_1)
	v_add_co_u32 v228, vcc_lo, s12, v2
	v_add_co_ci_u32_e64 v208, null, s13, v3, vcc_lo
	v_add_co_u32 v4, vcc_lo, v185, v42
	s_delay_alu instid0(VALU_DEP_1) | instskip(SKIP_1) | instid1(VALU_DEP_1)
	v_add_co_ci_u32_e64 v5, null, v186, v43, vcc_lo
	v_add_co_u32 v6, vcc_lo, v183, v42
	v_add_co_ci_u32_e64 v7, null, v184, v43, vcc_lo
	s_delay_alu instid0(VALU_DEP_4) | instskip(NEXT) | instid1(VALU_DEP_1)
	v_add_co_u32 v4, vcc_lo, v4, s46
	v_add_co_ci_u32_e64 v5, null, s47, v5, vcc_lo
	s_delay_alu instid0(VALU_DEP_4) | instskip(NEXT) | instid1(VALU_DEP_1)
	v_add_co_u32 v6, vcc_lo, v6, s46
	v_add_co_ci_u32_e64 v7, null, s47, v7, vcc_lo
	s_delay_alu instid0(VALU_DEP_4) | instskip(NEXT) | instid1(VALU_DEP_1)
	v_add_co_u32 v230, vcc_lo, s12, v4
	v_add_co_ci_u32_e64 v115, null, s13, v5, vcc_lo
	s_delay_alu instid0(VALU_DEP_4) | instskip(NEXT) | instid1(VALU_DEP_1)
	v_add_co_u32 v112, vcc_lo, s12, v6
	v_add_co_ci_u32_e64 v231, null, s13, v7, vcc_lo
	v_add_co_u32 v8, vcc_lo, v181, v42
	s_delay_alu instid0(VALU_DEP_1) | instskip(SKIP_1) | instid1(VALU_DEP_1)
	v_add_co_ci_u32_e64 v9, null, v182, v43, vcc_lo
	v_add_co_u32 v10, vcc_lo, v179, v42
	v_add_co_ci_u32_e64 v11, null, v180, v43, vcc_lo
	s_delay_alu instid0(VALU_DEP_4) | instskip(NEXT) | instid1(VALU_DEP_1)
	v_add_co_u32 v8, vcc_lo, v8, s46
	v_add_co_ci_u32_e64 v9, null, s47, v9, vcc_lo
	s_delay_alu instid0(VALU_DEP_4) | instskip(NEXT) | instid1(VALU_DEP_1)
	;; [unrolled: 17-line block ×7, first 2 shown]
	v_add_co_u32 v30, vcc_lo, v30, s46
	v_add_co_ci_u32_e64 v31, null, s47, v31, vcc_lo
	s_delay_alu instid0(VALU_DEP_4) | instskip(NEXT) | instid1(VALU_DEP_1)
	v_add_co_u32 v43, vcc_lo, s12, v28
	v_add_co_ci_u32_e64 v46, null, s13, v29, vcc_lo
	s_delay_alu instid0(VALU_DEP_4) | instskip(NEXT) | instid1(VALU_DEP_1)
	v_add_co_u32 v47, vcc_lo, s12, v30
	v_add_co_ci_u32_e64 v48, null, s13, v31, vcc_lo
	v_add_co_u32 v0, vcc_lo, s18, v0
	s_delay_alu instid0(VALU_DEP_1) | instskip(SKIP_1) | instid1(VALU_DEP_1)
	v_add_co_ci_u32_e64 v64, null, s19, v1, vcc_lo
	v_add_co_u32 v63, vcc_lo, s18, v2
	v_add_co_ci_u32_e64 v65, null, s19, v3, vcc_lo
	v_add_co_u32 v62, vcc_lo, s18, v4
	s_delay_alu instid0(VALU_DEP_1) | instskip(SKIP_1) | instid1(VALU_DEP_1)
	v_add_co_ci_u32_e64 v66, null, s19, v5, vcc_lo
	v_add_co_u32 v67, vcc_lo, s18, v6
	v_add_co_ci_u32_e64 v50, null, s19, v7, vcc_lo
	v_add_co_u32 v60, vcc_lo, s18, v8
	s_delay_alu instid0(VALU_DEP_1)
	v_add_co_ci_u32_e64 v9, null, s19, v9, vcc_lo
	v_mov_b32_e32 v8, v32
	v_add_co_u32 v32, vcc_lo, s18, v10
	v_mov_b32_e32 v42, v33
	v_add_co_ci_u32_e64 v33, null, s19, v11, vcc_lo
	v_mov_b32_e32 v10, v34
	v_add_co_u32 v34, vcc_lo, s18, v12
	s_delay_alu instid0(VALU_DEP_1) | instskip(SKIP_1) | instid1(VALU_DEP_1)
	v_add_co_ci_u32_e64 v1, null, s19, v13, vcc_lo
	v_add_co_u32 v2, vcc_lo, s18, v14
	v_add_co_ci_u32_e64 v3, null, s19, v15, vcc_lo
	v_add_co_u32 v39, vcc_lo, s18, v16
	v_mov_b32_e32 v16, v0
	v_mov_b32_e32 v0, 0
	v_add_co_ci_u32_e64 v5, null, s19, v17, vcc_lo
	v_add_co_u32 v18, vcc_lo, s18, v18
	s_delay_alu instid0(VALU_DEP_3)
	v_mov_b32_e32 v68, v0
	v_mov_b32_e32 v69, v0
	;; [unrolled: 1-line block ×8, first 2 shown]
	s_clause 0x1                            ; 32-byte Folded Spill
	scratch_store_b128 off, v[68:71], off offset:108
	scratch_store_b128 off, v[72:75], off offset:124
	v_mov_b32_e32 v11, v35
	v_mov_b32_e32 v13, v37
	;; [unrolled: 1-line block ×3, first 2 shown]
	v_add_co_ci_u32_e64 v2, null, s19, v19, vcc_lo
	v_add_co_u32 v35, vcc_lo, s18, v20
	v_dual_mov_b32 v12, v36 :: v_dual_mov_b32 v17, v1
	v_add_co_ci_u32_e64 v36, null, s19, v21, vcc_lo
	v_add_co_u32 v21, vcc_lo, s18, v22
	s_delay_alu instid0(VALU_DEP_1)
	v_add_co_ci_u32_e64 v22, null, s19, v23, vcc_lo
	v_add_co_u32 v23, vcc_lo, s18, v24
	s_clause 0x5                            ; 48-byte Folded Spill
	scratch_store_b64 off, v[253:254], off offset:912
	scratch_store_b64 off, v[251:252], off offset:904
	;; [unrolled: 1-line block ×6, first 2 shown]
	v_add_co_ci_u32_e64 v144, null, s19, v25, vcc_lo
	v_add_co_u32 v145, vcc_lo, s18, v26
	s_delay_alu instid0(VALU_DEP_1) | instskip(SKIP_1) | instid1(VALU_DEP_1)
	v_add_co_ci_u32_e64 v146, null, s19, v27, vcc_lo
	v_add_co_u32 v147, vcc_lo, s18, v28
	v_add_co_ci_u32_e64 v148, null, s19, v29, vcc_lo
	v_add_co_u32 v149, vcc_lo, s18, v30
	v_dual_mov_b32 v14, v38 :: v_dual_mov_b32 v19, v5
	v_dual_mov_b32 v38, v3 :: v_dual_mov_b32 v15, v48
	;; [unrolled: 1-line block ×5, first 2 shown]
	v_add_co_ci_u32_e64 v150, null, s19, v31, vcc_lo
	v_mov_b32_e32 v2, v0
	v_mov_b32_e32 v4, v0
	;; [unrolled: 1-line block ×12, first 2 shown]
	s_max_i32 s33, s3, 1
	s_mov_b32 s37, s36
	s_mov_b32 s38, s36
	;; [unrolled: 1-line block ×7, first 2 shown]
	s_clause 0x5                            ; 96-byte Folded Spill
	scratch_store_b128 off, v[52:55], off offset:552
	scratch_store_b128 off, v[56:59], off offset:568
	;; [unrolled: 1-line block ×6, first 2 shown]
.LBB0_124:                              ; =>This Inner Loop Header: Depth=1
	.loc	1 120 19                        ; attention_bwd.py:120:19 @[ attention_bwd.py:253:40 ]
	v_add_co_u32 v47, vcc_lo, v149, s34
	s_delay_alu instid0(VALU_DEP_1)
	v_add_co_ci_u32_e64 v48, null, s35, v150, vcc_lo
	s_clause 0x5                            ; 48-byte Folded Spill
	scratch_store_b128 off, v[172:175], off offset:208
	scratch_store_b128 off, v[176:179], off offset:224
	scratch_store_b32 off, v9, off offset:204
	scratch_store_b32 off, v60, off offset:172
	;; [unrolled: 1-line block ×4, first 2 shown]
	.loc	1 104 23                        ; attention_bwd.py:104:23 @[ attention_bwd.py:253:40 ]
	v_dual_mov_b32 v78, s43 :: v_dual_mov_b32 v73, s38
	.loc	1 102 21                        ; attention_bwd.py:102:21 @[ attention_bwd.py:253:40 ]
	global_load_u16 v0, v[47:48], off
	.loc	1 120 19                        ; attention_bwd.py:120:19 @[ attention_bwd.py:253:40 ]
	v_add_co_u32 v47, vcc_lo, v147, s34
	s_delay_alu instid0(VALU_DEP_1)
	v_add_co_ci_u32_e64 v48, null, s35, v148, vcc_lo
	.loc	1 104 23                        ; attention_bwd.py:104:23 @[ attention_bwd.py:253:40 ]
	v_dual_mov_b32 v76, s41 :: v_dual_mov_b32 v71, s36
	v_mov_b32_e32 v74, s39
	v_mov_b32_e32 v72, s37
	;; [unrolled: 1-line block ×10, first 2 shown]
	.loc	1 101 25                        ; attention_bwd.py:101:25 @[ attention_bwd.py:253:40 ]
	v_add_co_u32 v147, s30, v147, s46
	v_add_co_u32 v149, s31, v149, s46
	v_add_co_ci_u32_e64 v148, null, s47, v148, s30
	v_add_co_ci_u32_e64 v150, null, s47, v150, s31
	s_add_i32 s33, s33, -1
	.loc	1 120 19                        ; attention_bwd.py:120:19 @[ attention_bwd.py:253:40 ]
	scratch_store_b32 off, v17, off offset:240 ; 4-byte Folded Spill
	.loc	1 101 25                        ; attention_bwd.py:101:25 @[ attention_bwd.py:253:40 ]
	s_cmp_lg_u32 s33, 0
	.loc	1 104 23                        ; attention_bwd.py:104:23 @[ attention_bwd.py:253:40 ]
	v_mov_b32_e32 v75, s40
	v_dual_mov_b32 v77, s42 :: v_dual_mov_b32 v136, v218
	v_mov_b32_e32 v138, v220
	v_mov_b32_e32 v140, v222
	v_dual_mov_b32 v142, v224 :: v_dual_mov_b32 v143, v225
	v_mov_b32_e32 v254, v158
	v_dual_mov_b32 v252, v156 :: v_dual_mov_b32 v247, v151
	;; [unrolled: 2-line block ×3, first 2 shown]
	v_mov_b32_e32 v139, v221
	v_mov_b32_e32 v141, v223
	;; [unrolled: 1-line block ×5, first 2 shown]
	v_dual_mov_b32 v135, v126 :: v_dual_mov_b32 v134, v125
	v_mov_b32_e32 v129, v120
	v_dual_mov_b32 v133, v124 :: v_dual_mov_b32 v132, v123
	v_dual_mov_b32 v131, v122 :: v_dual_mov_b32 v130, v121
	v_mov_b32_e32 v128, v119
	v_mov_b32_e32 v31, v15
	;; [unrolled: 1-line block ×7, first 2 shown]
	v_dual_mov_b32 v11, v42 :: v_dual_mov_b32 v42, v41
	v_mov_b32_e32 v43, v234
	.loc	1 120 19                        ; attention_bwd.py:120:19 @[ attention_bwd.py:253:40 ]
	s_waitcnt vmcnt(0)
	scratch_store_b32 off, v0, off offset:264 ; 4-byte Folded Spill
	.loc	1 102 21                        ; attention_bwd.py:102:21 @[ attention_bwd.py:253:40 ]
	global_load_u16 v0, v[47:48], off
	.loc	1 120 19                        ; attention_bwd.py:120:19 @[ attention_bwd.py:253:40 ]
	v_add_co_u32 v47, vcc_lo, v145, s34
	s_delay_alu instid0(VALU_DEP_1) | instskip(SKIP_1) | instid1(VALU_DEP_1)
	v_add_co_ci_u32_e64 v48, null, s35, v146, vcc_lo
	.loc	1 101 25                        ; attention_bwd.py:101:25 @[ attention_bwd.py:253:40 ]
	v_add_co_u32 v145, s29, v145, s46
	v_add_co_ci_u32_e64 v146, null, s47, v146, s29
	.loc	1 120 19                        ; attention_bwd.py:120:19 @[ attention_bwd.py:253:40 ]
	s_waitcnt vmcnt(0)
	scratch_store_b32 off, v0, off offset:268 ; 4-byte Folded Spill
	.loc	1 102 21                        ; attention_bwd.py:102:21 @[ attention_bwd.py:253:40 ]
	global_load_u16 v0, v[47:48], off
	.loc	1 120 19                        ; attention_bwd.py:120:19 @[ attention_bwd.py:253:40 ]
	v_add_co_u32 v47, vcc_lo, v23, s34
	s_delay_alu instid0(VALU_DEP_1) | instskip(SKIP_1) | instid1(VALU_DEP_1)
	v_add_co_ci_u32_e64 v48, null, s35, v144, vcc_lo
	.loc	1 101 25                        ; attention_bwd.py:101:25 @[ attention_bwd.py:253:40 ]
	v_add_co_u32 v23, s28, v23, s46
	v_add_co_ci_u32_e64 v144, null, s47, v144, s28
	;; [unrolled: 12-line block ×4, first 2 shown]
	.loc	1 120 19                        ; attention_bwd.py:120:19 @[ attention_bwd.py:253:40 ]
	s_waitcnt vmcnt(0)
	scratch_store_b32 off, v0, off offset:276 ; 4-byte Folded Spill
	.loc	1 102 21                        ; attention_bwd.py:102:21 @[ attention_bwd.py:253:40 ]
	global_load_u16 v0, v[48:49], off
	.loc	1 120 19                        ; attention_bwd.py:120:19 @[ attention_bwd.py:253:40 ]
	v_add_co_u32 v48, vcc_lo, v18, s34
	s_delay_alu instid0(VALU_DEP_1)
	v_add_co_ci_u32_e64 v49, null, s35, v20, vcc_lo
	s_waitcnt vmcnt(0)
	s_clause 0x1                            ; 8-byte Folded Spill
	scratch_store_b32 off, v0, off offset:280
	scratch_store_b32 off, v18, off offset:244
	.loc	1 102 21                        ; attention_bwd.py:102:21 @[ attention_bwd.py:253:40 ]
	global_load_u16 v0, v[48:49], off
	.loc	1 120 19                        ; attention_bwd.py:120:19 @[ attention_bwd.py:253:40 ]
	v_add_co_u32 v48, vcc_lo, v39, s34
	s_delay_alu instid0(VALU_DEP_1) | instskip(SKIP_2) | instid1(VALU_DEP_1)
	v_add_co_ci_u32_e64 v49, null, s35, v19, vcc_lo
	v_mov_b32_e32 v18, v66
	.loc	1 101 25                        ; attention_bwd.py:101:25 @[ attention_bwd.py:253:40 ]
	v_add_co_u32 v39, s24, v39, s46
	v_add_co_ci_u32_e64 v19, null, s47, v19, s24
	.loc	1 120 19                        ; attention_bwd.py:120:19 @[ attention_bwd.py:253:40 ]
	s_waitcnt vmcnt(0)
	scratch_store_b32 off, v0, off offset:284 ; 4-byte Folded Spill
	.loc	1 102 21                        ; attention_bwd.py:102:21 @[ attention_bwd.py:253:40 ]
	global_load_u16 v0, v[48:49], off
	.loc	1 120 19                        ; attention_bwd.py:120:19 @[ attention_bwd.py:253:40 ]
	v_add_co_u32 v49, vcc_lo, v37, s34
	s_delay_alu instid0(VALU_DEP_1) | instskip(SKIP_1) | instid1(VALU_DEP_1)
	v_add_co_ci_u32_e64 v50, null, s35, v38, vcc_lo
	.loc	1 101 25                        ; attention_bwd.py:101:25 @[ attention_bwd.py:253:40 ]
	v_add_co_u32 v37, s23, v37, s46
	v_add_co_ci_u32_e64 v38, null, s47, v38, s23
	.loc	1 120 19                        ; attention_bwd.py:120:19 @[ attention_bwd.py:253:40 ]
	s_waitcnt vmcnt(0)
	scratch_store_b32 off, v0, off offset:252 ; 4-byte Folded Spill
	.loc	1 102 21                        ; attention_bwd.py:102:21 @[ attention_bwd.py:253:40 ]
	global_load_u16 v0, v[49:50], off
	.loc	1 120 19                        ; attention_bwd.py:120:19 @[ attention_bwd.py:253:40 ]
	v_add_co_u32 v49, vcc_lo, v34, s34
	s_delay_alu instid0(VALU_DEP_1)
	v_add_co_ci_u32_e64 v50, null, s35, v17, vcc_lo
	v_mov_b32_e32 v17, v65
	.loc	1 101 25                        ; attention_bwd.py:101:25 @[ attention_bwd.py:253:40 ]
	v_add_co_u32 v34, s22, v34, s46
	.loc	1 120 19                        ; attention_bwd.py:120:19 @[ attention_bwd.py:253:40 ]
	s_waitcnt vmcnt(0)
	scratch_store_b32 off, v0, off offset:288 ; 4-byte Folded Spill
	.loc	1 102 21                        ; attention_bwd.py:102:21 @[ attention_bwd.py:253:40 ]
	global_load_u16 v0, v[49:50], off
	.loc	1 120 19                        ; attention_bwd.py:120:19 @[ attention_bwd.py:253:40 ]
	v_add_co_u32 v49, vcc_lo, v32, s34
	s_delay_alu instid0(VALU_DEP_1) | instskip(SKIP_1) | instid1(VALU_DEP_1)
	v_add_co_ci_u32_e64 v50, null, s35, v33, vcc_lo
	.loc	1 101 25                        ; attention_bwd.py:101:25 @[ attention_bwd.py:253:40 ]
	v_add_co_u32 v32, s21, v32, s46
	v_add_co_ci_u32_e64 v33, null, s47, v33, s21
	.loc	1 120 19                        ; attention_bwd.py:120:19 @[ attention_bwd.py:253:40 ]
	s_waitcnt vmcnt(0)
	scratch_store_b32 off, v0, off offset:292 ; 4-byte Folded Spill
	.loc	1 102 21                        ; attention_bwd.py:102:21 @[ attention_bwd.py:253:40 ]
	global_load_u16 v0, v[49:50], off
	.loc	1 120 19                        ; attention_bwd.py:120:19 @[ attention_bwd.py:253:40 ]
	v_add_co_u32 v49, vcc_lo, v60, s34
	s_delay_alu instid0(VALU_DEP_1)
	v_add_co_ci_u32_e64 v50, null, s35, v9, vcc_lo
	scratch_load_b32 v9, off, off offset:4  ; 4-byte Folded Reload
	s_waitcnt vmcnt(1)
	scratch_store_b32 off, v0, off offset:296 ; 4-byte Folded Spill
	.loc	1 102 21                        ; attention_bwd.py:102:21 @[ attention_bwd.py:253:40 ]
	global_load_u16 v0, v[49:50], off
	v_mov_b32_e32 v50, v67
	s_delay_alu instid0(VALU_DEP_1)
	.loc	1 120 19                        ; attention_bwd.py:120:19 @[ attention_bwd.py:253:40 ]
	v_add_co_u32 v60, vcc_lo, v50, s34
	s_waitcnt vmcnt(1)
	v_add_co_ci_u32_e64 v61, null, s35, v9, vcc_lo
	v_mov_b32_e32 v9, v44
	v_mov_b32_e32 v44, v236
	s_waitcnt vmcnt(0)
	scratch_store_b32 off, v0, off offset:256 ; 4-byte Folded Spill
	.loc	1 102 21                        ; attention_bwd.py:102:21 @[ attention_bwd.py:253:40 ]
	global_load_u16 v0, v[60:61], off
	.loc	1 120 19                        ; attention_bwd.py:120:19 @[ attention_bwd.py:253:40 ]
	v_add_co_u32 v61, vcc_lo, v62, s34
	v_mov_b32_e32 v60, v62
	v_add_co_ci_u32_e64 v62, null, s35, v66, vcc_lo
	s_waitcnt vmcnt(0)
	scratch_store_b32 off, v0, off offset:328 ; 4-byte Folded Spill
	.loc	1 102 21                        ; attention_bwd.py:102:21 @[ attention_bwd.py:253:40 ]
	global_load_u16 v0, v[61:62], off
	.loc	1 120 19                        ; attention_bwd.py:120:19 @[ attention_bwd.py:253:40 ]
	v_add_co_u32 v62, vcc_lo, v63, s34
	s_delay_alu instid0(VALU_DEP_1) | instskip(SKIP_4) | instid1(VALU_DEP_1)
	v_add_co_ci_u32_e64 v63, null, s35, v65, vcc_lo
	v_mov_b32_e32 v61, v16
	v_mov_b32_e32 v16, v64
	.loc	1 102 21                        ; attention_bwd.py:102:21 @[ attention_bwd.py:253:40 ]
	global_load_u16 v62, v[62:63], off
	.loc	1 121 19                        ; attention_bwd.py:121:19 @[ attention_bwd.py:253:40 ]
	v_add_co_u32 v63, vcc_lo, v61, s34
	v_add_co_ci_u32_e64 v64, null, s35, v16, vcc_lo
	.loc	1 120 19                        ; attention_bwd.py:120:19 @[ attention_bwd.py:253:40 ]
	s_waitcnt vmcnt(1)
	scratch_store_b32 off, v0, off offset:360 ; 4-byte Folded Spill
	.loc	1 102 21                        ; attention_bwd.py:102:21 @[ attention_bwd.py:253:40 ]
	global_load_u16 v0, v[63:64], off
	.loc	1 117 25                        ; attention_bwd.py:117:25 @[ attention_bwd.py:253:40 ]
	s_waitcnt vmcnt(0)
	scratch_store_b32 off, v0, off offset:260 ; 4-byte Folded Spill
	s_waitcnt lgkmcnt(0)
	s_waitcnt_vscnt null, 0x0
	s_barrier
	buffer_gl0_inv
	s_clause 0x1                            ; 32-byte Folded Reload
	scratch_load_b128 v[0:3], off, off offset:456
	scratch_load_b128 v[4:7], off, off offset:472
	.loc	1 102 21                        ; attention_bwd.py:102:21 @[ attention_bwd.py:253:40 ]
	ds_load_u16 v166, v117 offset:768
	ds_load_u16 v161, v117 offset:128
	;; [unrolled: 1-line block ×6, first 2 shown]
	ds_load_u16 v160, v117
	ds_load_u16 v167, v117 offset:896
	ds_load_u16 v168, v117 offset:32
	;; [unrolled: 1-line block ×9, first 2 shown]
	.loc	1 103 21                        ; attention_bwd.py:103:21 @[ attention_bwd.py:253:40 ]
	ds_load_u16 v192, v117 offset:8192
	ds_load_u16 v193, v117 offset:8320
	;; [unrolled: 1-line block ×15, first 2 shown]
	.loc	1 102 21                        ; attention_bwd.py:102:21 @[ attention_bwd.py:253:40 ]
	s_waitcnt lgkmcnt(30)
	ds_load_u16_d16_hi v166, v117 offset:832
	s_waitcnt lgkmcnt(25)
	ds_load_u16_d16_hi v160, v117 offset:64
	ds_load_u16_d16_hi v161, v117 offset:192
	s_waitcnt lgkmcnt(25)
	ds_load_u16_d16_hi v168, v117 offset:96
	ds_load_u16_d16_hi v162, v117 offset:320
	;; [unrolled: 1-line block ×6, first 2 shown]
	s_waitcnt lgkmcnt(28)
	ds_load_u16_d16_hi v172, v117 offset:608
	ds_load_u16_d16_hi v171, v117 offset:480
	;; [unrolled: 1-line block ×3, first 2 shown]
	s_waitcnt lgkmcnt(29)
	ds_load_u16_d16_hi v169, v117 offset:224
	s_waitcnt lgkmcnt(28)
	ds_load_u16_d16_hi v175, v117 offset:992
	ds_load_u16_d16_hi v173, v117 offset:736
	;; [unrolled: 1-line block ×3, first 2 shown]
	.loc	1 103 21                        ; attention_bwd.py:103:21 @[ attention_bwd.py:253:40 ]
	s_waitcnt lgkmcnt(30)
	ds_load_u16_d16_hi v192, v117 offset:8256
	s_waitcnt lgkmcnt(29)
	ds_load_u16_d16_hi v63, v117 offset:8288
	ds_load_u16_d16_hi v193, v117 offset:8384
	s_waitcnt lgkmcnt(29)
	ds_load_u16_d16_hi v194, v117 offset:8512
	s_waitcnt lgkmcnt(29)
	;; [unrolled: 2-line block ×7, first 2 shown]
	ds_load_u16_d16_hi v69, v117 offset:9056
	ds_load_u16_d16_hi v68, v117 offset:8928
	s_waitcnt lgkmcnt(28)
	ds_load_u16_d16_hi v67, v117 offset:8800
	ds_load_u16 v65, v117 offset:8480
	s_waitcnt lgkmcnt(29)
	ds_load_u16_d16_hi v66, v117 offset:8672
	ds_load_u16_d16_hi v64, v117 offset:8416
	s_waitcnt lgkmcnt(2)
	ds_load_u16_d16_hi v65, v117 offset:8544
	ds_load_u16_d16_hi v70, v117 offset:9184
	.loc	1 104 23                        ; attention_bwd.py:104:23 @[ attention_bwd.py:253:40 ]
	s_waitcnt vmcnt(0)
	v_wmma_f32_16x16x16_f16 v[184:191], v[160:167], v[0:7], v[71:78]
	v_wmma_f32_16x16x16_f16 v[176:183], v[168:175], v[0:7], v[71:78]
	s_clause 0x1                            ; 32-byte Folded Reload
	scratch_load_b128 v[0:3], off, off offset:424
	scratch_load_b128 v[4:7], off, off offset:440
	.loc	1 112 24                        ; attention_bwd.py:112:24 @[ attention_bwd.py:253:40 ]
	s_waitcnt lgkmcnt(0)
	v_wmma_f32_16x16x16_f16 v[160:167], v[63:70], v[151:158], v[71:78]
	.loc	1 102 21                        ; attention_bwd.py:102:21 @[ attention_bwd.py:253:40 ]
	ds_load_u16 v63, v117 offset:1024
	ds_load_u16 v64, v117 offset:1152
	ds_load_u16 v65, v117 offset:1280
	ds_load_u16 v66, v117 offset:1408
	ds_load_u16 v67, v117 offset:1536
	ds_load_u16 v69, v117 offset:1792
	ds_load_u16 v70, v117 offset:1920
	ds_load_u16 v68, v117 offset:1664
	s_waitcnt lgkmcnt(7)
	ds_load_u16_d16_hi v63, v117 offset:1088
	s_waitcnt lgkmcnt(7)
	ds_load_u16_d16_hi v64, v117 offset:1216
	;; [unrolled: 2-line block ×8, first 2 shown]
	.loc	1 112 24                        ; attention_bwd.py:112:24 @[ attention_bwd.py:253:40 ]
	v_wmma_f32_16x16x16_f16 v[168:175], v[192:199], v[151:158], v[71:78]
	.loc	1 102 21                        ; attention_bwd.py:102:21 @[ attention_bwd.py:253:40 ]
	ds_load_u16 v194, v117 offset:7456
	ds_load_u16 v193, v117 offset:7328
	ds_load_u16 v192, v117 offset:7200
	ds_load_u16 v199, v117 offset:8096
	ds_load_u16 v198, v117 offset:7968
	ds_load_u16 v197, v117 offset:7840
	ds_load_u16 v195, v117 offset:7584
	ds_load_u16 v196, v117 offset:7712
	s_waitcnt lgkmcnt(7)
	ds_load_u16_d16_hi v194, v117 offset:7520
	s_waitcnt lgkmcnt(7)
	ds_load_u16_d16_hi v193, v117 offset:7392
	;; [unrolled: 2-line block ×8, first 2 shown]
	v_dual_mov_b32 v152, v239 :: v_dual_mov_b32 v159, v246
	v_dual_mov_b32 v153, v240 :: v_dual_mov_b32 v154, v241
	;; [unrolled: 1-line block ×4, first 2 shown]
	.loc	1 104 23                        ; attention_bwd.py:104:23 @[ attention_bwd.py:253:40 ]
	s_waitcnt vmcnt(0)
	v_wmma_f32_16x16x16_f16 v[184:191], v[63:70], v[0:7], v[184:191]
	.loc	1 102 21                        ; attention_bwd.py:102:21 @[ attention_bwd.py:253:40 ]
	ds_load_u16 v65, v117 offset:1312
	ds_load_u16 v64, v117 offset:1184
	;; [unrolled: 1-line block ×8, first 2 shown]
	s_waitcnt lgkmcnt(7)
	ds_load_u16_d16_hi v65, v117 offset:1376
	s_waitcnt lgkmcnt(7)
	ds_load_u16_d16_hi v64, v117 offset:1248
	;; [unrolled: 2-line block ×8, first 2 shown]
	.loc	1 104 23                        ; attention_bwd.py:104:23 @[ attention_bwd.py:253:40 ]
	s_waitcnt lgkmcnt(0)
	v_wmma_f32_16x16x16_f16 v[176:183], v[63:70], v[0:7], v[176:183]
	s_clause 0x1                            ; 32-byte Folded Reload
	scratch_load_b128 v[0:3], off, off offset:392
	scratch_load_b128 v[4:7], off, off offset:408
	.loc	1 103 21                        ; attention_bwd.py:103:21 @[ attention_bwd.py:253:40 ]
	ds_load_u16 v63, v117 offset:9216
	ds_load_u16 v65, v117 offset:9472
	;; [unrolled: 1-line block ×8, first 2 shown]
	s_waitcnt lgkmcnt(7)
	ds_load_u16_d16_hi v63, v117 offset:9280
	s_waitcnt lgkmcnt(7)
	ds_load_u16_d16_hi v65, v117 offset:9536
	;; [unrolled: 2-line block ×8, first 2 shown]
	.loc	1 112 24                        ; attention_bwd.py:112:24 @[ attention_bwd.py:253:40 ]
	s_waitcnt lgkmcnt(0)
	v_wmma_f32_16x16x16_f16 v[168:175], v[63:70], v[104:111], v[168:175]
	.loc	1 103 21                        ; attention_bwd.py:103:21 @[ attention_bwd.py:253:40 ]
	ds_load_u16 v67, v117 offset:9760
	ds_load_u16 v66, v117 offset:9632
	;; [unrolled: 1-line block ×8, first 2 shown]
	s_waitcnt lgkmcnt(7)
	ds_load_u16_d16_hi v67, v117 offset:9824
	s_waitcnt lgkmcnt(7)
	ds_load_u16_d16_hi v66, v117 offset:9696
	;; [unrolled: 2-line block ×8, first 2 shown]
	.loc	1 112 24                        ; attention_bwd.py:112:24 @[ attention_bwd.py:253:40 ]
	s_waitcnt lgkmcnt(0)
	v_wmma_f32_16x16x16_f16 v[160:167], v[63:70], v[104:111], v[160:167]
	.loc	1 102 21                        ; attention_bwd.py:102:21 @[ attention_bwd.py:253:40 ]
	ds_load_u16 v63, v117 offset:2048
	ds_load_u16 v64, v117 offset:2176
	;; [unrolled: 1-line block ×8, first 2 shown]
	s_waitcnt lgkmcnt(7)
	ds_load_u16_d16_hi v63, v117 offset:2112
	s_waitcnt lgkmcnt(7)
	ds_load_u16_d16_hi v64, v117 offset:2240
	;; [unrolled: 2-line block ×8, first 2 shown]
	.loc	1 104 23                        ; attention_bwd.py:104:23 @[ attention_bwd.py:253:40 ]
	s_waitcnt vmcnt(0) lgkmcnt(0)
	v_wmma_f32_16x16x16_f16 v[184:191], v[63:70], v[0:7], v[184:191]
	.loc	1 102 21                        ; attention_bwd.py:102:21 @[ attention_bwd.py:253:40 ]
	ds_load_u16 v63, v117 offset:2080
	ds_load_u16 v69, v117 offset:2848
	;; [unrolled: 1-line block ×8, first 2 shown]
	s_waitcnt lgkmcnt(7)
	ds_load_u16_d16_hi v63, v117 offset:2144
	s_waitcnt lgkmcnt(7)
	ds_load_u16_d16_hi v69, v117 offset:2912
	;; [unrolled: 2-line block ×8, first 2 shown]
	.loc	1 104 23                        ; attention_bwd.py:104:23 @[ attention_bwd.py:253:40 ]
	s_waitcnt lgkmcnt(0)
	v_wmma_f32_16x16x16_f16 v[176:183], v[63:70], v[0:7], v[176:183]
	.loc	1 103 21                        ; attention_bwd.py:103:21 @[ attention_bwd.py:253:40 ]
	ds_load_u16 v63, v117 offset:10240
	ds_load_u16 v64, v117 offset:10368
	;; [unrolled: 1-line block ×8, first 2 shown]
	s_waitcnt lgkmcnt(7)
	ds_load_u16_d16_hi v63, v117 offset:10304
	s_waitcnt lgkmcnt(7)
	ds_load_u16_d16_hi v64, v117 offset:10432
	;; [unrolled: 2-line block ×8, first 2 shown]
	s_clause 0x1                            ; 32-byte Folded Reload
	scratch_load_b128 v[0:3], off, off offset:520
	scratch_load_b128 v[4:7], off, off offset:536
	.loc	1 112 24                        ; attention_bwd.py:112:24 @[ attention_bwd.py:253:40 ]
	s_waitcnt lgkmcnt(0)
	v_wmma_f32_16x16x16_f16 v[168:175], v[63:70], v[79:86], v[168:175]
	.loc	1 103 21                        ; attention_bwd.py:103:21 @[ attention_bwd.py:253:40 ]
	ds_load_u16 v65, v117 offset:10528
	ds_load_u16 v64, v117 offset:10400
	ds_load_u16 v63, v117 offset:10272
	ds_load_u16 v70, v117 offset:11168
	ds_load_u16 v69, v117 offset:11040
	ds_load_u16 v68, v117 offset:10912
	ds_load_u16 v66, v117 offset:10656
	ds_load_u16 v67, v117 offset:10784
	s_waitcnt lgkmcnt(7)
	ds_load_u16_d16_hi v65, v117 offset:10592
	s_waitcnt lgkmcnt(7)
	ds_load_u16_d16_hi v64, v117 offset:10464
	s_waitcnt lgkmcnt(7)
	ds_load_u16_d16_hi v63, v117 offset:10336
	s_waitcnt lgkmcnt(7)
	ds_load_u16_d16_hi v70, v117 offset:11232
	s_waitcnt lgkmcnt(7)
	ds_load_u16_d16_hi v69, v117 offset:11104
	s_waitcnt lgkmcnt(7)
	ds_load_u16_d16_hi v68, v117 offset:10976
	s_waitcnt lgkmcnt(7)
	ds_load_u16_d16_hi v66, v117 offset:10720
	s_waitcnt lgkmcnt(7)
	ds_load_u16_d16_hi v67, v117 offset:10848
	.loc	1 112 24                        ; attention_bwd.py:112:24 @[ attention_bwd.py:253:40 ]
	s_waitcnt lgkmcnt(0)
	v_wmma_f32_16x16x16_f16 v[160:167], v[63:70], v[79:86], v[160:167]
	.loc	1 102 21                        ; attention_bwd.py:102:21 @[ attention_bwd.py:253:40 ]
	ds_load_u16 v63, v117 offset:3072
	ds_load_u16 v65, v117 offset:3328
	ds_load_u16 v66, v117 offset:3456
	ds_load_u16 v67, v117 offset:3584
	ds_load_u16 v68, v117 offset:3712
	ds_load_u16 v69, v117 offset:3840
	ds_load_u16 v64, v117 offset:3200
	ds_load_u16 v70, v117 offset:3968
	s_waitcnt lgkmcnt(7)
	ds_load_u16_d16_hi v63, v117 offset:3136
	s_waitcnt lgkmcnt(7)
	ds_load_u16_d16_hi v65, v117 offset:3392
	s_waitcnt lgkmcnt(7)
	ds_load_u16_d16_hi v66, v117 offset:3520
	s_waitcnt lgkmcnt(7)
	ds_load_u16_d16_hi v67, v117 offset:3648
	s_waitcnt lgkmcnt(7)
	ds_load_u16_d16_hi v68, v117 offset:3776
	s_waitcnt lgkmcnt(7)
	ds_load_u16_d16_hi v69, v117 offset:3904
	s_waitcnt lgkmcnt(7)
	ds_load_u16_d16_hi v64, v117 offset:3264
	s_waitcnt lgkmcnt(7)
	ds_load_u16_d16_hi v70, v117 offset:4032
	;; [unrolled: 28-line block ×4, first 2 shown]
	v_dual_mov_b32 v225, v207 :: v_dual_mov_b32 v224, v206
	v_mov_b32_e32 v219, v201
	v_dual_mov_b32 v223, v205 :: v_dual_mov_b32 v222, v204
	v_dual_mov_b32 v221, v203 :: v_dual_mov_b32 v220, v202
	v_mov_b32_e32 v218, v200
	.loc	1 112 24                        ; attention_bwd.py:112:24 @[ attention_bwd.py:253:40 ]
	s_waitcnt lgkmcnt(0)
	v_wmma_f32_16x16x16_f16 v[168:175], v[63:70], v[239:246], v[168:175]
	.loc	1 103 21                        ; attention_bwd.py:103:21 @[ attention_bwd.py:253:40 ]
	ds_load_u16 v63, v117 offset:11296
	ds_load_u16 v69, v117 offset:12064
	;; [unrolled: 1-line block ×8, first 2 shown]
	s_waitcnt lgkmcnt(7)
	ds_load_u16_d16_hi v63, v117 offset:11360
	s_waitcnt lgkmcnt(7)
	ds_load_u16_d16_hi v69, v117 offset:12128
	;; [unrolled: 2-line block ×8, first 2 shown]
	.loc	1 112 24                        ; attention_bwd.py:112:24 @[ attention_bwd.py:253:40 ]
	s_waitcnt lgkmcnt(0)
	v_wmma_f32_16x16x16_f16 v[160:167], v[63:70], v[239:246], v[160:167]
	.loc	1 102 21                        ; attention_bwd.py:102:21 @[ attention_bwd.py:253:40 ]
	ds_load_u16 v63, v117 offset:4096
	ds_load_u16 v64, v117 offset:4224
	;; [unrolled: 1-line block ×8, first 2 shown]
	s_waitcnt lgkmcnt(7)
	ds_load_u16_d16_hi v63, v117 offset:4160
	s_waitcnt lgkmcnt(7)
	ds_load_u16_d16_hi v64, v117 offset:4288
	;; [unrolled: 2-line block ×8, first 2 shown]
	v_dual_mov_b32 v246, v111 :: v_dual_mov_b32 v239, v104
	v_mov_b32_e32 v244, v109
	v_mov_b32_e32 v242, v107
	v_dual_mov_b32 v240, v105 :: v_dual_mov_b32 v245, v110
	v_mov_b32_e32 v243, v108
	v_mov_b32_e32 v241, v106
	.loc	1 104 23                        ; attention_bwd.py:104:23 @[ attention_bwd.py:253:40 ]
	s_waitcnt lgkmcnt(0)
	v_wmma_f32_16x16x16_f16 v[184:191], v[63:70], v[210:217], v[184:191]
	.loc	1 102 21                        ; attention_bwd.py:102:21 @[ attention_bwd.py:253:40 ]
	ds_load_u16 v65, v117 offset:4384
	ds_load_u16 v64, v117 offset:4256
	;; [unrolled: 1-line block ×8, first 2 shown]
	s_waitcnt lgkmcnt(7)
	ds_load_u16_d16_hi v65, v117 offset:4448
	s_waitcnt lgkmcnt(7)
	ds_load_u16_d16_hi v64, v117 offset:4320
	;; [unrolled: 2-line block ×8, first 2 shown]
	.loc	1 104 23                        ; attention_bwd.py:104:23 @[ attention_bwd.py:253:40 ]
	s_waitcnt lgkmcnt(0)
	v_wmma_f32_16x16x16_f16 v[176:183], v[63:70], v[210:217], v[176:183]
	.loc	1 103 21                        ; attention_bwd.py:103:21 @[ attention_bwd.py:253:40 ]
	ds_load_u16 v63, v117 offset:12288
	ds_load_u16 v65, v117 offset:12544
	;; [unrolled: 1-line block ×8, first 2 shown]
	s_waitcnt lgkmcnt(7)
	ds_load_u16_d16_hi v63, v117 offset:12352
	s_waitcnt lgkmcnt(7)
	ds_load_u16_d16_hi v65, v117 offset:12608
	;; [unrolled: 2-line block ×8, first 2 shown]
	.loc	1 112 24                        ; attention_bwd.py:112:24 @[ attention_bwd.py:253:40 ]
	s_waitcnt vmcnt(0) lgkmcnt(0)
	v_wmma_f32_16x16x16_f16 v[168:175], v[63:70], v[0:7], v[168:175]
	.loc	1 103 21                        ; attention_bwd.py:103:21 @[ attention_bwd.py:253:40 ]
	ds_load_u16 v67, v117 offset:12832
	ds_load_u16 v66, v117 offset:12704
	;; [unrolled: 1-line block ×8, first 2 shown]
	s_waitcnt lgkmcnt(7)
	ds_load_u16_d16_hi v67, v117 offset:12896
	s_waitcnt lgkmcnt(7)
	ds_load_u16_d16_hi v66, v117 offset:12768
	;; [unrolled: 2-line block ×8, first 2 shown]
	.loc	1 112 24                        ; attention_bwd.py:112:24 @[ attention_bwd.py:253:40 ]
	s_waitcnt lgkmcnt(0)
	v_wmma_f32_16x16x16_f16 v[160:167], v[63:70], v[0:7], v[160:167]
	s_clause 0x1                            ; 32-byte Folded Reload
	scratch_load_b128 v[0:3], off, off offset:488
	scratch_load_b128 v[4:7], off, off offset:504
	.loc	1 102 21                        ; attention_bwd.py:102:21 @[ attention_bwd.py:253:40 ]
	ds_load_u16 v63, v117 offset:5120
	ds_load_u16 v64, v117 offset:5248
	;; [unrolled: 1-line block ×8, first 2 shown]
	s_waitcnt lgkmcnt(7)
	ds_load_u16_d16_hi v63, v117 offset:5184
	s_waitcnt lgkmcnt(7)
	ds_load_u16_d16_hi v64, v117 offset:5312
	;; [unrolled: 2-line block ×8, first 2 shown]
	.loc	1 104 23                        ; attention_bwd.py:104:23 @[ attention_bwd.py:253:40 ]
	s_waitcnt lgkmcnt(0)
	v_wmma_f32_16x16x16_f16 v[184:191], v[63:70], v[200:207], v[184:191]
	.loc	1 102 21                        ; attention_bwd.py:102:21 @[ attention_bwd.py:253:40 ]
	ds_load_u16 v63, v117 offset:5152
	ds_load_u16 v69, v117 offset:5920
	;; [unrolled: 1-line block ×8, first 2 shown]
	s_waitcnt lgkmcnt(7)
	ds_load_u16_d16_hi v63, v117 offset:5216
	s_waitcnt lgkmcnt(7)
	ds_load_u16_d16_hi v69, v117 offset:5984
	;; [unrolled: 2-line block ×8, first 2 shown]
	.loc	1 104 23                        ; attention_bwd.py:104:23 @[ attention_bwd.py:253:40 ]
	s_waitcnt lgkmcnt(0)
	v_wmma_f32_16x16x16_f16 v[176:183], v[63:70], v[200:207], v[176:183]
	.loc	1 103 21                        ; attention_bwd.py:103:21 @[ attention_bwd.py:253:40 ]
	ds_load_u16 v63, v117 offset:13312
	ds_load_u16 v64, v117 offset:13440
	;; [unrolled: 1-line block ×8, first 2 shown]
	s_waitcnt lgkmcnt(7)
	ds_load_u16_d16_hi v63, v117 offset:13376
	s_waitcnt lgkmcnt(7)
	ds_load_u16_d16_hi v64, v117 offset:13504
	;; [unrolled: 2-line block ×8, first 2 shown]
	v_dual_mov_b32 v207, v86 :: v_dual_mov_b32 v206, v85
	v_mov_b32_e32 v201, v80
	v_mov_b32_e32 v205, v84
	;; [unrolled: 1-line block ×3, first 2 shown]
	.loc	1 112 24                        ; attention_bwd.py:112:24 @[ attention_bwd.py:253:40 ]
	s_waitcnt lgkmcnt(0)
	v_wmma_f32_16x16x16_f16 v[168:175], v[63:70], v[119:126], v[168:175]
	.loc	1 103 21                        ; attention_bwd.py:103:21 @[ attention_bwd.py:253:40 ]
	ds_load_u16 v65, v117 offset:13600
	ds_load_u16 v64, v117 offset:13472
	;; [unrolled: 1-line block ×8, first 2 shown]
	s_waitcnt lgkmcnt(7)
	ds_load_u16_d16_hi v65, v117 offset:13664
	s_waitcnt lgkmcnt(7)
	ds_load_u16_d16_hi v64, v117 offset:13536
	;; [unrolled: 2-line block ×8, first 2 shown]
	.loc	1 112 24                        ; attention_bwd.py:112:24 @[ attention_bwd.py:253:40 ]
	s_waitcnt lgkmcnt(0)
	v_wmma_f32_16x16x16_f16 v[160:167], v[63:70], v[119:126], v[160:167]
	.loc	1 102 21                        ; attention_bwd.py:102:21 @[ attention_bwd.py:253:40 ]
	ds_load_u16 v63, v117 offset:6144
	ds_load_u16 v65, v117 offset:6400
	;; [unrolled: 1-line block ×8, first 2 shown]
	s_waitcnt lgkmcnt(7)
	ds_load_u16_d16_hi v63, v117 offset:6208
	s_waitcnt lgkmcnt(7)
	ds_load_u16_d16_hi v65, v117 offset:6464
	;; [unrolled: 2-line block ×8, first 2 shown]
	v_dual_mov_b32 v127, v95 :: v_dual_mov_b32 v126, v94
	v_mov_b32_e32 v123, v91
	v_mov_b32_e32 v125, v93
	v_mov_b32_e32 v121, v89
	.loc	1 104 23                        ; attention_bwd.py:104:23 @[ attention_bwd.py:253:40 ]
	s_waitcnt lgkmcnt(0)
	v_wmma_f32_16x16x16_f16 v[184:191], v[63:70], v[96:103], v[184:191]
	.loc	1 102 21                        ; attention_bwd.py:102:21 @[ attention_bwd.py:253:40 ]
	ds_load_u16 v67, v117 offset:6688
	ds_load_u16 v66, v117 offset:6560
	;; [unrolled: 1-line block ×8, first 2 shown]
	s_waitcnt lgkmcnt(7)
	ds_load_u16_d16_hi v67, v117 offset:6752
	s_waitcnt lgkmcnt(7)
	ds_load_u16_d16_hi v66, v117 offset:6624
	;; [unrolled: 2-line block ×8, first 2 shown]
	.loc	1 104 23                        ; attention_bwd.py:104:23 @[ attention_bwd.py:253:40 ]
	s_waitcnt lgkmcnt(0)
	v_wmma_f32_16x16x16_f16 v[176:183], v[63:70], v[96:103], v[176:183]
	.loc	1 103 21                        ; attention_bwd.py:103:21 @[ attention_bwd.py:253:40 ]
	ds_load_u16 v63, v117 offset:14336
	ds_load_u16 v64, v117 offset:14464
	;; [unrolled: 1-line block ×8, first 2 shown]
	s_waitcnt lgkmcnt(7)
	ds_load_u16_d16_hi v63, v117 offset:14400
	s_waitcnt lgkmcnt(7)
	ds_load_u16_d16_hi v64, v117 offset:14528
	;; [unrolled: 2-line block ×8, first 2 shown]
	.loc	1 104 23                        ; attention_bwd.py:104:23 @[ attention_bwd.py:253:40 ]
	v_wmma_f32_16x16x16_f16 v[176:183], v[192:199], v[52:59], v[176:183]
	v_mov_b32_e32 v204, v83
	v_mov_b32_e32 v202, v81
	s_delay_alu instid0(VALU_DEP_3) | instskip(NEXT) | instid1(VALU_DEP_4)
	.loc	1 105 30                        ; attention_bwd.py:105:30 @[ attention_bwd.py:253:40 ]
	v_sub_f32_e32 v74, v176, v113
	v_sub_f32_e32 v75, v177, v113
	;; [unrolled: 1-line block ×5, first 2 shown]
	.loc	1 112 24                        ; attention_bwd.py:112:24 @[ attention_bwd.py:253:40 ]
	s_waitcnt vmcnt(0) lgkmcnt(0)
	v_wmma_f32_16x16x16_f16 v[168:175], v[63:70], v[0:7], v[168:175]
	.loc	1 103 21                        ; attention_bwd.py:103:21 @[ attention_bwd.py:253:40 ]
	ds_load_u16 v63, v117 offset:14368
	ds_load_u16 v69, v117 offset:15136
	;; [unrolled: 1-line block ×8, first 2 shown]
	s_waitcnt lgkmcnt(7)
	ds_load_u16_d16_hi v63, v117 offset:14432
	s_waitcnt lgkmcnt(7)
	ds_load_u16_d16_hi v69, v117 offset:15200
	;; [unrolled: 2-line block ×8, first 2 shown]
	.loc	1 112 24                        ; attention_bwd.py:112:24 @[ attention_bwd.py:253:40 ]
	s_waitcnt lgkmcnt(0)
	v_wmma_f32_16x16x16_f16 v[160:167], v[63:70], v[0:7], v[160:167]
	.loc	1 102 21                        ; attention_bwd.py:102:21 @[ attention_bwd.py:253:40 ]
	ds_load_u16 v63, v117 offset:7168
	ds_load_u16 v64, v117 offset:7296
	;; [unrolled: 1-line block ×8, first 2 shown]
	s_waitcnt lgkmcnt(7)
	ds_load_u16_d16_hi v63, v117 offset:7232
	s_waitcnt lgkmcnt(7)
	ds_load_u16_d16_hi v64, v117 offset:7360
	;; [unrolled: 2-line block ×8, first 2 shown]
	.loc	1 104 23                        ; attention_bwd.py:104:23 @[ attention_bwd.py:253:40 ]
	s_waitcnt lgkmcnt(0)
	v_wmma_f32_16x16x16_f16 v[184:191], v[63:70], v[52:59], v[184:191]
	.loc	1 103 21                        ; attention_bwd.py:103:21 @[ attention_bwd.py:253:40 ]
	ds_load_u16 v63, v117 offset:15360
	ds_load_u16 v69, v117 offset:16128
	;; [unrolled: 1-line block ×8, first 2 shown]
	s_waitcnt lgkmcnt(7)
	ds_load_u16_d16_hi v63, v117 offset:15424
	s_waitcnt lgkmcnt(7)
	ds_load_u16_d16_hi v69, v117 offset:16192
	;; [unrolled: 2-line block ×8, first 2 shown]
	.loc	1 105 30                        ; attention_bwd.py:105:30 @[ attention_bwd.py:253:40 ]
	v_sub_f32_e32 v71, v189, v113
	v_sub_f32_e32 v72, v190, v113
	v_dual_sub_f32 v73, v191, v113 :: v_dual_mov_b32 v52, v210
	v_dual_mov_b32 v53, v211 :: v_dual_mov_b32 v54, v212
	v_dual_mov_b32 v55, v213 :: v_dual_mov_b32 v56, v214
	;; [unrolled: 1-line block ×3, first 2 shown]
	v_mov_b32_e32 v59, v217
	v_dual_mov_b32 v217, v103 :: v_dual_mov_b32 v212, v98
	v_mov_b32_e32 v210, v96
	v_dual_mov_b32 v216, v102 :: v_dual_mov_b32 v211, v97
	v_mov_b32_e32 v215, v101
	v_mov_b32_e32 v213, v99
	.loc	1 112 24                        ; attention_bwd.py:112:24 @[ attention_bwd.py:253:40 ]
	s_waitcnt lgkmcnt(0)
	v_wmma_f32_16x16x16_f16 v[168:175], v[63:70], v[88:95], v[168:175]
	.loc	1 103 21                        ; attention_bwd.py:103:21 @[ attention_bwd.py:253:40 ]
	ds_load_u16 v67, v117 offset:15904
	ds_load_u16 v66, v117 offset:15776
	;; [unrolled: 1-line block ×8, first 2 shown]
	s_waitcnt lgkmcnt(7)
	ds_load_u16_d16_hi v67, v117 offset:15968
	s_waitcnt lgkmcnt(7)
	ds_load_u16_d16_hi v66, v117 offset:15840
	s_waitcnt lgkmcnt(7)
	ds_load_u16_d16_hi v65, v117 offset:15712
	s_waitcnt lgkmcnt(7)
	ds_load_u16_d16_hi v64, v117 offset:15584
	s_waitcnt lgkmcnt(7)
	ds_load_u16_d16_hi v63, v117 offset:15456
	s_waitcnt lgkmcnt(7)
	ds_load_u16_d16_hi v68, v117 offset:16096
	s_waitcnt lgkmcnt(7)
	ds_load_u16_d16_hi v69, v117 offset:16224
	s_waitcnt lgkmcnt(7)
	ds_load_u16_d16_hi v70, v117 offset:16352
	.loc	1 113 23                        ; attention_bwd.py:113:23 @[ attention_bwd.py:253:40 ]
	v_dual_sub_f32 v87, v173, v114 :: v_dual_mov_b32 v200, v79
	v_sub_f32_e32 v83, v169, v114
	v_sub_f32_e32 v82, v168, v114
	;; [unrolled: 1-line block ×4, first 2 shown]
	v_mov_b32_e32 v124, v92
	.loc	1 105 30                        ; attention_bwd.py:105:30 @[ attention_bwd.py:253:40 ]
	v_dual_sub_f32 v80, v182, v113 :: v_dual_sub_f32 v85, v171, v114
	v_sub_f32_e32 v79, v181, v113
	v_sub_f32_e32 v81, v183, v113
	.loc	1 112 24                        ; attention_bwd.py:112:24 @[ attention_bwd.py:253:40 ]
	s_waitcnt lgkmcnt(0)
	v_wmma_f32_16x16x16_f16 v[160:167], v[63:70], v[88:95], v[160:167]
	.loc	1 105 30                        ; attention_bwd.py:105:30 @[ attention_bwd.py:253:40 ]
	v_sub_f32_e32 v66, v184, v113
	v_sub_f32_e32 v68, v186, v113
	;; [unrolled: 1-line block ×3, first 2 shown]
	v_mov_b32_e32 v122, v90
	v_dual_mov_b32 v120, v88 :: v_dual_sub_f32 v93, v163, v114
	.loc	1 113 23                        ; attention_bwd.py:113:23 @[ attention_bwd.py:253:40 ]
	v_sub_f32_e32 v95, v165, v114
	v_sub_f32_e32 v88, v174, v114
	;; [unrolled: 1-line block ×5, first 2 shown]
	.loc	1 121 19                        ; attention_bwd.py:121:19 @[ attention_bwd.py:253:40 ]
	v_add_co_u32 v63, vcc_lo, v30, s34
	s_delay_alu instid0(VALU_DEP_1) | instskip(SKIP_4) | instid1(VALU_DEP_1)
	v_add_co_ci_u32_e64 v64, null, s35, v31, vcc_lo
	v_dual_mov_b32 v214, v100 :: v_dual_sub_f32 v97, v167, v114
	.loc	1 113 23                        ; attention_bwd.py:113:23 @[ attention_bwd.py:253:40 ]
	v_sub_f32_e32 v96, v166, v114
	.loc	1 103 21                        ; attention_bwd.py:103:21 @[ attention_bwd.py:253:40 ]
	global_load_u16 v119, v[63:64], off
	.loc	1 121 19                        ; attention_bwd.py:121:19 @[ attention_bwd.py:253:40 ]
	v_add_co_u32 v63, vcc_lo, v28, s34
	v_add_co_ci_u32_e64 v64, null, s35, v29, vcc_lo
	.loc	1 113 23                        ; attention_bwd.py:113:23 @[ attention_bwd.py:253:40 ]
	v_sub_f32_e32 v91, v161, v114
	.loc	1 105 30                        ; attention_bwd.py:105:30 @[ attention_bwd.py:253:40 ]
	v_sub_f32_e32 v67, v185, v113
	v_sub_f32_e32 v69, v187, v113
	.loc	1 103 21                        ; attention_bwd.py:103:21 @[ attention_bwd.py:253:40 ]
	global_load_u16 v196, v[63:64], off
	.loc	1 121 19                        ; attention_bwd.py:121:19 @[ attention_bwd.py:253:40 ]
	v_add_co_u32 v63, vcc_lo, v26, s34
	s_delay_alu instid0(VALU_DEP_1) | instskip(SKIP_3) | instid1(VALU_DEP_1)
	v_add_co_ci_u32_e64 v64, null, s35, v27, vcc_lo
	.loc	1 113 23                        ; attention_bwd.py:113:23 @[ attention_bwd.py:253:40 ]
	v_sub_f32_e32 v89, v175, v114
	.loc	1 103 21                        ; attention_bwd.py:103:21 @[ attention_bwd.py:253:40 ]
	global_load_u16 v197, v[63:64], off
	.loc	1 121 19                        ; attention_bwd.py:121:19 @[ attention_bwd.py:253:40 ]
	v_add_co_u32 v63, vcc_lo, v24, s34
	v_add_co_ci_u32_e64 v64, null, s35, v9, vcc_lo
	.loc	1 103 21                        ; attention_bwd.py:103:21 @[ attention_bwd.py:253:40 ]
	global_load_u16 v63, v[63:64], off
	.loc	1 121 19                        ; attention_bwd.py:121:19 @[ attention_bwd.py:253:40 ]
	v_add_co_u32 v64, vcc_lo, v14, s34
	s_delay_alu instid0(VALU_DEP_1) | instskip(SKIP_2) | instid1(VALU_DEP_1)
	v_add_co_ci_u32_e64 v65, null, s35, v15, vcc_lo
	.loc	1 103 21                        ; attention_bwd.py:103:21 @[ attention_bwd.py:253:40 ]
	global_load_u16 v161, v[64:65], off
	.loc	1 121 19                        ; attention_bwd.py:121:19 @[ attention_bwd.py:253:40 ]
	v_add_co_u32 v64, vcc_lo, v12, s34
	v_add_co_ci_u32_e64 v65, null, s35, v13, vcc_lo
	.loc	1 103 21                        ; attention_bwd.py:103:21 @[ attention_bwd.py:253:40 ]
	global_load_u16 v162, v[64:65], off
	.loc	1 121 19                        ; attention_bwd.py:121:19 @[ attention_bwd.py:253:40 ]
	v_add_co_u32 v64, vcc_lo, v10, s34
	s_delay_alu instid0(VALU_DEP_1) | instskip(SKIP_2) | instid1(VALU_DEP_1)
	v_add_co_ci_u32_e64 v65, null, s35, v11, vcc_lo
	.loc	1 103 21                        ; attention_bwd.py:103:21 @[ attention_bwd.py:253:40 ]
	global_load_u16 v163, v[64:65], off
	.loc	1 121 19                        ; attention_bwd.py:121:19 @[ attention_bwd.py:253:40 ]
	v_add_co_u32 v64, vcc_lo, v238, s34
	v_add_co_ci_u32_e64 v65, null, s35, v255, vcc_lo
	.loc	1 103 21                        ; attention_bwd.py:103:21 @[ attention_bwd.py:253:40 ]
	global_load_u16 v160, v[64:65], off
	.loc	1 121 19                        ; attention_bwd.py:121:19 @[ attention_bwd.py:253:40 ]
	v_add_co_u32 v64, vcc_lo, v236, s34
	s_delay_alu instid0(VALU_DEP_1) | instskip(SKIP_3) | instid1(VALU_DEP_1)
	v_add_co_ci_u32_e64 v65, null, s35, v237, vcc_lo
	v_dual_mov_b32 v236, v112 :: v_dual_mov_b32 v237, v51
	.loc	1 103 21                        ; attention_bwd.py:103:21 @[ attention_bwd.py:253:40 ]
	global_load_u16 v165, v[64:65], off
	.loc	1 121 19                        ; attention_bwd.py:121:19 @[ attention_bwd.py:253:40 ]
	v_add_co_u32 v64, vcc_lo, v41, s34
	v_add_co_ci_u32_e64 v65, null, s35, v234, vcc_lo
	v_mov_b32_e32 v41, v40
	.loc	1 103 21                        ; attention_bwd.py:103:21 @[ attention_bwd.py:253:40 ]
	global_load_u16 v166, v[64:65], off
	.loc	1 121 19                        ; attention_bwd.py:121:19 @[ attention_bwd.py:253:40 ]
	v_add_co_u32 v64, vcc_lo, v233, s34
	s_delay_alu instid0(VALU_DEP_1) | instskip(SKIP_3) | instid1(VALU_DEP_1)
	v_add_co_ci_u32_e64 v65, null, s35, v40, vcc_lo
	v_mov_b32_e32 v40, v233
	.loc	1 103 21                        ; attention_bwd.py:103:21 @[ attention_bwd.py:253:40 ]
	global_load_u16 v167, v[64:65], off
	.loc	1 121 19                        ; attention_bwd.py:121:19 @[ attention_bwd.py:253:40 ]
	v_add_co_u32 v64, vcc_lo, v51, s34
	v_add_co_ci_u32_e64 v65, null, s35, v232, vcc_lo
	v_mov_b32_e32 v51, v231
	.loc	1 103 21                        ; attention_bwd.py:103:21 @[ attention_bwd.py:253:40 ]
	global_load_u16 v164, v[64:65], off
	.loc	1 121 19                        ; attention_bwd.py:121:19 @[ attention_bwd.py:253:40 ]
	v_add_co_u32 v64, vcc_lo, v112, s34
	s_delay_alu instid0(VALU_DEP_1)
	v_add_co_ci_u32_e64 v65, null, s35, v231, vcc_lo
	v_mov_b32_e32 v112, v115
	v_mov_b32_e32 v46, v238
	;; [unrolled: 1-line block ×3, first 2 shown]
	.loc	1 103 21                        ; attention_bwd.py:103:21 @[ attention_bwd.py:253:40 ]
	global_load_u16 v169, v[64:65], off
	.loc	1 121 19                        ; attention_bwd.py:121:19 @[ attention_bwd.py:253:40 ]
	v_add_co_u32 v64, vcc_lo, v230, s34
	s_delay_alu instid0(VALU_DEP_1) | instskip(SKIP_3) | instid1(VALU_DEP_1)
	v_add_co_ci_u32_e64 v65, null, s35, v115, vcc_lo
	v_mov_b32_e32 v115, v230
	.loc	1 103 21                        ; attention_bwd.py:103:21 @[ attention_bwd.py:253:40 ]
	global_load_u16 v170, v[64:65], off
	.loc	1 121 19                        ; attention_bwd.py:121:19 @[ attention_bwd.py:253:40 ]
	v_add_co_u32 v64, vcc_lo, v228, s34
	v_add_co_ci_u32_e64 v65, null, s35, v208, vcc_lo
	.loc	1 101 25                        ; attention_bwd.py:101:25 @[ attention_bwd.py:253:40 ]
	v_add_co_u32 v228, s0, v228, s46
	s_delay_alu instid0(VALU_DEP_1) | instskip(SKIP_2) | instid1(VALU_DEP_1)
	v_add_co_ci_u32_e64 v208, null, s47, v208, s0
	.loc	1 103 21                        ; attention_bwd.py:103:21 @[ attention_bwd.py:253:40 ]
	global_load_u16 v171, v[64:65], off
	.loc	1 102 21                        ; attention_bwd.py:102:21 @[ attention_bwd.py:253:40 ]
	v_add_co_u32 v64, vcc_lo, v229, s34
	v_add_co_ci_u32_e64 v65, null, s35, v227, vcc_lo
	.loc	1 101 25                        ; attention_bwd.py:101:25 @[ attention_bwd.py:253:40 ]
	v_add_co_u32 v229, vcc_lo, v229, s46
	s_delay_alu instid0(VALU_DEP_1)
	v_add_co_ci_u32_e64 v227, null, s47, v227, vcc_lo
	.loc	1 103 21                        ; attention_bwd.py:103:21 @[ attention_bwd.py:253:40 ]
	global_load_u16 v168, v[64:65], off
	.loc	1 105 25                        ; attention_bwd.py:105:25 @[ attention_bwd.py:253:40 ]
	v_exp_f32_e32 v64, v66
	.loc	1 114 19                        ; attention_bwd.py:114:19 @[ attention_bwd.py:253:40 ]
	s_waitcnt_depctr depctr_va_vdst(0)
	v_fma_mixlo_f16 v104, v64, v82, 0
	.loc	1 105 25                        ; attention_bwd.py:105:25 @[ attention_bwd.py:253:40 ]
	v_exp_f32_e32 v64, v67
	.loc	1 114 19                        ; attention_bwd.py:114:19 @[ attention_bwd.py:253:40 ]
	s_waitcnt_depctr depctr_va_vdst(0)
	v_fma_mixlo_f16 v105, v64, v83, 0
	;; [unrolled: 5-line block ×16, first 2 shown]
	.loc	1 117 25                        ; attention_bwd.py:117:25 @[ attention_bwd.py:253:40 ]
	ds_load_b128 v[64:67], v116
	ds_load_b128 v[68:71], v116 offset:16
	ds_load_b128 v[72:75], v116 offset:32
	;; [unrolled: 1-line block ×15, first 2 shown]
	.loc	1 114 19                        ; attention_bwd.py:114:19 @[ attention_bwd.py:253:40 ]
	ds_store_b16 v118, v104 offset:16384
	ds_store_b16 v118, v105 offset:16640
	;; [unrolled: 1-line block ×16, first 2 shown]
	v_dual_mov_b32 v230, v115 :: v_dual_mov_b32 v115, v112
	v_mov_b32_e32 v112, v236
	v_dual_mov_b32 v236, v44 :: v_dual_mov_b32 v231, v51
	v_mov_b32_e32 v51, v237
	v_dual_mov_b32 v237, v45 :: v_dual_mov_b32 v232, v238
	v_dual_mov_b32 v238, v46 :: v_dual_mov_b32 v233, v40
	;; [unrolled: 1-line block ×3, first 2 shown]
	v_mov_b32_e32 v234, v43
	.loc	1 101 25                        ; attention_bwd.py:101:25 @[ attention_bwd.py:253:40 ]
	v_add_co_u32 v230, s1, v230, s46
	v_add_co_u32 v112, s3, v112, s46
	;; [unrolled: 1-line block ×5, first 2 shown]
	v_add_co_ci_u32_e64 v115, null, s47, v115, s1
	v_add_co_ci_u32_e64 v231, null, s47, v231, s3
	.loc	1 114 19                        ; attention_bwd.py:114:19 @[ attention_bwd.py:253:40 ]
	s_waitcnt vmcnt(0) lgkmcnt(0)
	s_barrier
	buffer_gl0_inv
	.loc	1 102 21                        ; attention_bwd.py:102:21 @[ attention_bwd.py:253:40 ]
	s_clause 0x2                            ; 36-byte Folded Reload
	scratch_load_b128 v[1:4], off, off offset:76
	scratch_load_b128 v[5:8], off, off offset:92
	scratch_load_b32 v0, off, off offset:264
	.loc	1 114 19                        ; attention_bwd.py:114:19 @[ attention_bwd.py:253:40 ]
	ds_load_u16 v104, v209 offset:16384
	ds_load_u16 v105, v209 offset:16640
	;; [unrolled: 1-line block ×8, first 2 shown]
	s_waitcnt lgkmcnt(7)
	ds_load_u16_d16_hi v104, v209 offset:16512
	s_waitcnt lgkmcnt(7)
	ds_load_u16_d16_hi v105, v209 offset:16768
	;; [unrolled: 2-line block ×8, first 2 shown]
	s_clause 0x1                            ; 32-byte Folded Reload
	scratch_load_b128 v[42:45], off, off offset:108
	scratch_load_b128 v[46:49], off, off offset:124
	.loc	1 117 25                        ; attention_bwd.py:117:25 @[ attention_bwd.py:253:40 ]
	s_waitcnt vmcnt(3) lgkmcnt(0)
	v_wmma_f32_16x16x16_f16 v[1:8], v[64:71], v[104:111], v[1:8]
	.loc	1 114 19                        ; attention_bwd.py:114:19 @[ attention_bwd.py:253:40 ]
	ds_load_u16 v64, v209 offset:18432
	ds_load_u16 v65, v209 offset:18688
	;; [unrolled: 1-line block ×8, first 2 shown]
	s_waitcnt lgkmcnt(7)
	ds_load_u16_d16_hi v64, v209 offset:18560
	s_waitcnt lgkmcnt(7)
	ds_load_u16_d16_hi v65, v209 offset:18816
	;; [unrolled: 2-line block ×8, first 2 shown]
	.loc	1 102 21                        ; attention_bwd.py:102:21 @[ attention_bwd.py:253:40 ]
	s_waitcnt vmcnt(2)
	ds_store_b16 v235, v0
	scratch_load_b32 v0, off, off offset:268 ; 4-byte Folded Reload
	.loc	1 117 25                        ; attention_bwd.py:117:25 @[ attention_bwd.py:253:40 ]
	s_waitcnt vmcnt(1)
	v_wmma_f32_16x16x16_f16 v[42:49], v[172:179], v[104:111], v[42:49]
	s_clause 0x1                            ; 32-byte Folded Reload
	scratch_load_b128 v[172:175], off, off offset:208
	scratch_load_b128 v[176:179], off, off offset:224
	.loc	1 103 21                        ; attention_bwd.py:103:21 @[ attention_bwd.py:253:40 ]
	ds_store_b16 v235, v196 offset:8704
	ds_store_b16 v235, v197 offset:9216
	;; [unrolled: 1-line block ×11, first 2 shown]
	.loc	1 117 25                        ; attention_bwd.py:117:25 @[ attention_bwd.py:253:40 ]
	s_waitcnt lgkmcnt(12)
	v_wmma_f32_16x16x16_f16 v[1:8], v[72:79], v[64:71], v[1:8]
	v_wmma_f32_16x16x16_f16 v[42:49], v[180:187], v[64:71], v[42:49]
	s_clause 0x3                            ; 64-byte Folded Spill
	scratch_store_b128 off, v[42:45], off offset:108
	scratch_store_b128 off, v[46:49], off offset:124
	;; [unrolled: 1-line block ×4, first 2 shown]
	.loc	1 101 25                        ; attention_bwd.py:101:25 @[ attention_bwd.py:253:40 ]
	v_add_co_u32 v8, s9, v10, s46
	v_add_co_u32 v10, s10, v12, s46
	;; [unrolled: 1-line block ×4, first 2 shown]
	s_delay_alu instid0(VALU_DEP_1)
	v_add_co_ci_u32_e64 v44, null, s47, v9, s12
	v_add_co_u32 v24, s13, v26, s46
	v_add_co_u32 v43, s14, v28, s46
	;; [unrolled: 1-line block ×3, first 2 shown]
	v_add_co_ci_u32_e64 v42, null, s47, v11, s9
	v_add_co_ci_u32_e64 v11, null, s47, v13, s10
	;; [unrolled: 1-line block ×6, first 2 shown]
	scratch_load_b32 v9, off, off offset:204 ; 4-byte Folded Reload
	.loc	1 102 21                        ; attention_bwd.py:102:21 @[ attention_bwd.py:253:40 ]
	s_waitcnt vmcnt(3)
	ds_store_b16 v235, v0 offset:512
	scratch_load_b32 v0, off, off offset:272 ; 4-byte Folded Reload
	.loc	1 117 25                        ; attention_bwd.py:117:25 @[ attention_bwd.py:253:40 ]
	s_waitcnt vmcnt(2)
	v_wmma_f32_16x16x16_f16 v[172:179], v[188:195], v[104:111], v[172:179]
	s_clause 0x1                            ; 32-byte Folded Reload
	scratch_load_b128 v[188:191], off, off offset:36
	scratch_load_b128 v[192:195], off, off offset:52
	v_wmma_f32_16x16x16_f16 v[172:179], v[80:87], v[64:71], v[172:179]
	v_dual_mov_b32 v79, v200 :: v_dual_mov_b32 v80, v201
	v_dual_mov_b32 v81, v202 :: v_dual_mov_b32 v82, v203
	;; [unrolled: 1-line block ×9, first 2 shown]
	v_mov_b32_e32 v222, v140
	v_mov_b32_e32 v220, v138
	v_dual_mov_b32 v218, v136 :: v_dual_mov_b32 v223, v141
	v_mov_b32_e32 v221, v139
	v_mov_b32_e32 v219, v137
	.loc	1 101 25                        ; attention_bwd.py:101:25 @[ attention_bwd.py:253:40 ]
	v_add_co_ci_u32_e64 v234, null, s47, v234, s6
	.loc	1 102 21                        ; attention_bwd.py:102:21 @[ attention_bwd.py:253:40 ]
	s_waitcnt vmcnt(2)
	ds_store_b16 v235, v0 offset:1024
	scratch_load_b32 v0, off, off offset:276 ; 4-byte Folded Reload
	.loc	1 117 25                        ; attention_bwd.py:117:25 @[ attention_bwd.py:253:40 ]
	s_waitcnt vmcnt(1)
	v_wmma_f32_16x16x16_f16 v[188:195], v[88:95], v[104:111], v[188:195]
	v_mov_b32_e32 v88, v120
	v_mov_b32_e32 v90, v122
	;; [unrolled: 1-line block ×4, first 2 shown]
	v_wmma_f32_16x16x16_f16 v[188:195], v[96:103], v[64:71], v[188:195]
	v_mov_b32_e32 v96, v210
	v_dual_mov_b32 v66, v18 :: v_dual_mov_b32 v97, v211
	v_dual_mov_b32 v98, v212 :: v_dual_mov_b32 v99, v213
	v_dual_mov_b32 v100, v214 :: v_dual_mov_b32 v101, v215
	v_dual_mov_b32 v102, v216 :: v_dual_mov_b32 v67, v50
	v_mov_b32_e32 v103, v217
	v_mov_b32_e32 v217, v59
	v_dual_mov_b32 v104, v239 :: v_dual_mov_b32 v107, v242
	v_dual_mov_b32 v212, v54 :: v_dual_mov_b32 v105, v240
	;; [unrolled: 1-line block ×4, first 2 shown]
	v_mov_b32_e32 v110, v245
	v_dual_mov_b32 v246, v159 :: v_dual_mov_b32 v243, v156
	v_dual_mov_b32 v245, v158 :: v_dual_mov_b32 v244, v157
	;; [unrolled: 1-line block ×4, first 2 shown]
	v_mov_b32_e32 v159, v226
	s_clause 0x1                            ; 8-byte Folded Reload
	scratch_load_b32 v18, off, off offset:244
	scratch_load_b32 v50, off, off offset:4
	v_mov_b32_e32 v65, v17
	scratch_load_b32 v17, off, off offset:240 ; 4-byte Folded Reload
	v_dual_mov_b32 v64, v16 :: v_dual_mov_b32 v215, v57
	v_mov_b32_e32 v216, v58
	v_dual_mov_b32 v214, v56 :: v_dual_mov_b32 v213, v55
	v_dual_mov_b32 v211, v53 :: v_dual_mov_b32 v210, v52
	s_clause 0x1                            ; 32-byte Folded Reload
	scratch_load_b128 v[52:55], off, off offset:552
	scratch_load_b128 v[56:59], off, off offset:568
	v_mov_b32_e32 v89, v121
	v_mov_b32_e32 v93, v125
	;; [unrolled: 1-line block ×3, first 2 shown]
	.loc	1 101 25                        ; attention_bwd.py:101:25 @[ attention_bwd.py:253:40 ]
	v_add_co_u32 v236, s7, v236, s46
	v_add_co_u32 v238, s8, v238, s46
	v_add_co_u32 v16, s16, v61, s46
	v_add_co_u32 v67, s19, v67, s46
	v_mov_b32_e32 v91, v123
	v_mov_b32_e32 v95, v127
	v_add_co_ci_u32_e64 v232, null, s47, v232, s4
	v_add_co_ci_u32_e64 v40, null, s47, v40, s5
	;; [unrolled: 1-line block ×5, first 2 shown]
	s_clause 0x1                            ; 32-byte Folded Spill
	scratch_store_b128 off, v[188:191], off offset:36
	scratch_store_b128 off, v[192:195], off offset:52
	v_mov_b32_e32 v152, v248
	v_mov_b32_e32 v154, v250
	;; [unrolled: 1-line block ×3, first 2 shown]
	v_dual_mov_b32 v158, v254 :: v_dual_mov_b32 v153, v249
	v_mov_b32_e32 v155, v251
	v_mov_b32_e32 v157, v253
	.loc	1 102 21                        ; attention_bwd.py:102:21 @[ attention_bwd.py:253:40 ]
	s_waitcnt vmcnt(5)
	ds_store_b16 v235, v0 offset:2048
	scratch_load_b32 v0, off, off offset:280 ; 4-byte Folded Reload
	.loc	1 101 25                        ; attention_bwd.py:101:25 @[ attention_bwd.py:253:40 ]
	s_waitcnt vmcnt(5)
	v_add_co_u32 v18, s25, v18, s46
	s_delay_alu instid0(VALU_DEP_1)
	v_add_co_ci_u32_e64 v20, null, s47, v20, s25
	s_waitcnt vmcnt(3)
	v_add_co_ci_u32_e64 v17, null, s47, v17, s22
	.loc	1 102 21                        ; attention_bwd.py:102:21 @[ attention_bwd.py:253:40 ]
	s_waitcnt vmcnt(0)
	ds_store_b16 v235, v0 offset:2560
	scratch_load_b32 v0, off, off offset:284 ; 4-byte Folded Reload
	s_waitcnt vmcnt(0)
	ds_store_b16 v235, v0 offset:3072
	scratch_load_b32 v0, off, off offset:288 ; 4-byte Folded Reload
	;; [unrolled: 3-line block ×7, first 2 shown]
	s_waitcnt vmcnt(0)
	ds_store_b16 v159, v0
	s_clause 0x1                            ; 8-byte Folded Reload
	scratch_load_b32 v47, off, off
	scratch_load_b32 v0, off, off offset:252
	ds_store_b16 v235, v62 offset:7168
	v_mov_b32_e32 v62, v60
	scratch_load_b32 v60, off, off offset:172 ; 4-byte Folded Reload
	.loc	1 101 25                        ; attention_bwd.py:101:25 @[ attention_bwd.py:253:40 ]
	v_add_co_ci_u32_e64 v50, null, s47, v50, s19
	v_add_co_u32 v62, s18, v62, s46
	s_delay_alu instid0(VALU_DEP_1)
	v_add_co_ci_u32_e64 v66, null, s47, v66, s18
	.loc	1 102 21                        ; attention_bwd.py:102:21 @[ attention_bwd.py:253:40 ]
	s_waitcnt vmcnt(1)
	ds_store_b16 v47, v0
	s_clause 0x1                            ; 8-byte Folded Reload
	scratch_load_b32 v48, off, off offset:68
	scratch_load_b32 v0, off, off offset:256
	.loc	1 103 21                        ; attention_bwd.py:103:21 @[ attention_bwd.py:253:40 ]
	ds_store_b16 v235, v119 offset:8192
	.loc	1 101 25                        ; attention_bwd.py:101:25 @[ attention_bwd.py:253:40 ]
	s_waitcnt vmcnt(2)
	v_add_co_u32 v60, s20, v60, s46
	v_dual_mov_b32 v119, v128 :: v_dual_mov_b32 v120, v129
	v_dual_mov_b32 v121, v130 :: v_dual_mov_b32 v122, v131
	;; [unrolled: 1-line block ×4, first 2 shown]
	v_add_co_ci_u32_e64 v9, null, s47, v9, s20
	.loc	1 102 21                        ; attention_bwd.py:102:21 @[ attention_bwd.py:253:40 ]
	s_waitcnt vmcnt(0)
	ds_store_b16 v48, v0
	s_clause 0x1                            ; 8-byte Folded Reload
	scratch_load_b32 v49, off, off offset:72
	scratch_load_b32 v0, off, off offset:260
	s_waitcnt vmcnt(0)
	ds_store_b16 v49, v0
	.loc	1 103 21                        ; attention_bwd.py:103:21 @[ attention_bwd.py:253:40 ]
	ds_store_b16 v159, v63 offset:8192
	s_clause 0x1                            ; 8-byte Folded Reload
	scratch_load_b32 v63, off, off offset:140
	scratch_load_b32 v47, off, off
	s_waitcnt vmcnt(0)
	ds_store_b16 v47, v160 offset:8192
	ds_store_b16 v48, v164 offset:8192
	;; [unrolled: 1-line block ×3, first 2 shown]
	.loc	1 101 25                        ; attention_bwd.py:101:25 @[ attention_bwd.py:253:40 ]
	v_add_co_u32 v63, s17, v63, s46
	s_delay_alu instid0(VALU_DEP_1)
	v_add_co_ci_u32_e64 v65, null, s47, v65, s17
	s_cbranch_scc1 .LBB0_124
; %bb.125:                              ; %Flow
	.loc	1 0 25 is_stmt 0                ; attention_bwd.py:0:25
	s_clause 0xe                            ; 168-byte Folded Reload
	scratch_load_b64 v[236:237], off, off offset:584
	scratch_load_b64 v[149:150], off, off offset:616
	;; [unrolled: 1-line block ×9, first 2 shown]
	scratch_load_b128 v[16:19], off, off offset:108
	scratch_load_b128 v[20:23], off, off offset:124
	;; [unrolled: 1-line block ×6, first 2 shown]
	v_dual_mov_b32 v198, v179 :: v_dual_mov_b32 v197, v178
	v_dual_mov_b32 v196, v177 :: v_dual_mov_b32 v195, v176
	;; [unrolled: 1-line block ×4, first 2 shown]
.LBB0_126:                              ; %._crit_edge332
	v_dual_mov_b32 v176, 0 :: v_dual_mov_b32 v169, 0
	v_dual_mov_b32 v168, 0 :: v_dual_mov_b32 v171, 0
	;; [unrolled: 1-line block ×8, first 2 shown]
	v_mov_b32_e32 v166, 0
	.loc	1 104 23 is_stmt 1              ; attention_bwd.py:104:23 @[ attention_bwd.py:253:40 ]
	s_and_b32 vcc_lo, exec_lo, s2
	.loc	1 117 25                        ; attention_bwd.py:117:25 @[ attention_bwd.py:253:40 ]
	s_waitcnt vmcnt(0) lgkmcnt(0)
	s_waitcnt_vscnt null, 0x0
	s_barrier
	buffer_gl0_inv
	.loc	1 104 23                        ; attention_bwd.py:104:23 @[ attention_bwd.py:253:40 ]
	s_cbranch_vccnz .LBB0_128
; %bb.127:
	.loc	1 0 23 is_stmt 0                ; attention_bwd.py:0:23
	s_clause 0x1                            ; 32-byte Folded Reload
	scratch_load_b128 v[24:27], off, off offset:456
	scratch_load_b128 v[28:31], off, off offset:472
	.loc	1 102 21 is_stmt 1              ; attention_bwd.py:102:21 @[ attention_bwd.py:253:40 ]
	ds_load_u16 v188, v117 offset:1408
	ds_load_u16 v179, v117 offset:1312
	;; [unrolled: 1-line block ×12, first 2 shown]
	v_dual_mov_b32 v8, v191 :: v_dual_mov_b32 v9, v192
	v_dual_mov_b32 v10, v193 :: v_dual_mov_b32 v11, v194
	;; [unrolled: 1-line block ×4, first 2 shown]
	s_mov_b32 s4, 0
	v_dual_mov_b32 v135, v210 :: v_dual_mov_b32 v136, v211
	.loc	1 104 23                        ; attention_bwd.py:104:23 @[ attention_bwd.py:253:40 ]
	s_mov_b32 s11, s4
	s_mov_b32 s5, s4
	;; [unrolled: 1-line block ×7, first 2 shown]
	.loc	1 102 21                        ; attention_bwd.py:102:21 @[ attention_bwd.py:253:40 ]
	ds_load_u16 v192, v117 offset:1920
	ds_load_u16 v191, v117 offset:1792
	;; [unrolled: 1-line block ×3, first 2 shown]
	s_waitcnt lgkmcnt(14)
	ds_load_u16_d16_hi v188, v117 offset:1472
	s_waitcnt lgkmcnt(14)
	ds_load_u16_d16_hi v179, v117 offset:1376
	s_waitcnt lgkmcnt(14)
	ds_load_u16_d16_hi v184, v117 offset:2016
	s_waitcnt lgkmcnt(14)
	ds_load_u16_d16_hi v189, v117 offset:1600
	s_waitcnt lgkmcnt(14)
	ds_load_u16_d16_hi v180, v117 offset:1504
	s_waitcnt lgkmcnt(14)
	ds_load_u16_d16_hi v36, v117 offset:576
	ds_load_u16 v45, v117 offset:672
	ds_load_u16 v38, v117 offset:768
	;; [unrolled: 1-line block ×4, first 2 shown]
	s_waitcnt lgkmcnt(18)
	ds_load_u16_d16_hi v43, v117 offset:480
	ds_load_u16 v33, v117 offset:128
	ds_load_u16 v40, v117 offset:32
	s_waitcnt lgkmcnt(20)
	ds_load_u16_d16_hi v37, v117 offset:704
	ds_load_u16 v47, v117 offset:928
	ds_load_u16 v46, v117 offset:800
	;; [unrolled: 1-line block ×3, first 2 shown]
	ds_load_u16 v32, v117
	ds_load_u16 v34, v117 offset:256
	ds_load_u16 v182, v117 offset:1696
	;; [unrolled: 1-line block ×3, first 2 shown]
	s_waitcnt lgkmcnt(24)
	ds_load_u16_d16_hi v190, v117 offset:1728
	ds_load_u16_d16_hi v181, v117 offset:1632
	ds_load_u16 v177, v117 offset:1056
	.loc	1 104 23                        ; attention_bwd.py:104:23 @[ attention_bwd.py:253:40 ]
	v_dual_mov_b32 v167, s11 :: v_dual_mov_b32 v166, s10
	v_dual_mov_b32 v165, s9 :: v_dual_mov_b32 v164, s8
	;; [unrolled: 1-line block ×8, first 2 shown]
	.loc	1 102 21                        ; attention_bwd.py:102:21 @[ attention_bwd.py:253:40 ]
	s_waitcnt lgkmcnt(24)
	ds_load_u16_d16_hi v35, v117 offset:448
	ds_load_u16 v185, v117 offset:1024
	ds_load_u16 v187, v117 offset:1280
	;; [unrolled: 1-line block ×3, first 2 shown]
	s_waitcnt lgkmcnt(20)
	ds_load_u16_d16_hi v38, v117 offset:832
	ds_load_u16_d16_hi v45, v117 offset:736
	s_waitcnt lgkmcnt(21)
	ds_load_u16_d16_hi v44, v117 offset:608
	s_waitcnt lgkmcnt(19)
	;; [unrolled: 2-line block ×3, first 2 shown]
	ds_load_u16_d16_hi v40, v117 offset:96
	ds_load_u16_d16_hi v192, v117 offset:1984
	s_waitcnt lgkmcnt(19)
	ds_load_u16_d16_hi v47, v117 offset:992
	s_waitcnt lgkmcnt(19)
	;; [unrolled: 2-line block ×3, first 2 shown]
	ds_load_u16_d16_hi v39, v117 offset:960
	ds_load_u16_d16_hi v42, v117 offset:352
	s_waitcnt lgkmcnt(19)
	ds_load_u16_d16_hi v34, v117 offset:320
	ds_load_u16_d16_hi v32, v117 offset:64
	s_waitcnt lgkmcnt(19)
	ds_load_u16_d16_hi v41, v117 offset:224
	ds_load_u16_d16_hi v183, v117 offset:1888
	;; [unrolled: 1-line block ×5, first 2 shown]
	s_waitcnt lgkmcnt(19)
	ds_load_u16_d16_hi v185, v117 offset:1088
	ds_load_u16 v208, v117 offset:2944
	ds_load_u16 v70, v117 offset:5920
	s_waitcnt lgkmcnt(21)
	ds_load_u16_d16_hi v187, v117 offset:1344
	s_waitcnt lgkmcnt(21)
	ds_load_u16_d16_hi v186, v117 offset:1216
	ds_load_u16_d16_hi v177, v117 offset:1120
	v_dual_mov_b32 v215, v156 :: v_dual_mov_b32 v214, v155
	v_dual_mov_b32 v213, v154 :: v_dual_mov_b32 v212, v153
	;; [unrolled: 1-line block ×3, first 2 shown]
	ds_load_u16 v152, v117 offset:4480
	ds_load_u16 v153, v117 offset:4608
	;; [unrolled: 1-line block ×4, first 2 shown]
	s_clause 0x1                            ; 32-byte Folded Spill
	scratch_store_b128 off, v[226:229], off offset:36
	scratch_store_b128 off, v[230:233], off offset:52
	v_dual_mov_b32 v233, v207 :: v_dual_mov_b32 v232, v206
	v_dual_mov_b32 v231, v205 :: v_dual_mov_b32 v230, v204
	v_dual_mov_b32 v229, v203 :: v_dual_mov_b32 v228, v202
	v_dual_mov_b32 v227, v201 :: v_dual_mov_b32 v226, v200
	.loc	1 104 23                        ; attention_bwd.py:104:23 @[ attention_bwd.py:253:40 ]
	s_waitcnt vmcnt(0) lgkmcnt(15)
	v_wmma_f32_16x16x16_f16 v[168:175], v[32:39], v[24:31], v[160:167]
	s_waitcnt lgkmcnt(14)
	v_wmma_f32_16x16x16_f16 v[160:167], v[40:47], v[24:31], v[160:167]
	s_clause 0x3                            ; 64-byte Folded Reload
	scratch_load_b128 v[24:27], off, off offset:424
	scratch_load_b128 v[28:31], off, off offset:440
	;; [unrolled: 1-line block ×4, first 2 shown]
	.loc	1 102 21                        ; attention_bwd.py:102:21 @[ attention_bwd.py:253:40 ]
	ds_load_u16 v35, v117 offset:7552
	.loc	1 104 23                        ; attention_bwd.py:104:23 @[ attention_bwd.py:253:40 ]
	s_waitcnt vmcnt(2) lgkmcnt(6)
	v_wmma_f32_16x16x16_f16 v[168:175], v[185:192], v[24:31], v[168:175]
	s_waitcnt lgkmcnt(5)
	v_wmma_f32_16x16x16_f16 v[160:167], v[177:184], v[24:31], v[160:167]
	.loc	1 102 21                        ; attention_bwd.py:102:21 @[ attention_bwd.py:253:40 ]
	ds_load_u16 v180, v117 offset:3488
	s_waitcnt lgkmcnt(5)
	ds_load_u16_d16_hi v152, v117 offset:4544
	ds_load_u16 v189, v117 offset:3584
	ds_load_u16 v156, v117 offset:4992
	;; [unrolled: 1-line block ×3, first 2 shown]
	s_waitcnt lgkmcnt(8)
	ds_load_u16_d16_hi v153, v117 offset:4672
	ds_load_u16 v182, v117 offset:3744
	ds_load_u16 v185, v117 offset:3072
	v_dual_mov_b32 v31, v23 :: v_dual_mov_b32 v30, v22
	v_dual_mov_b32 v29, v21 :: v_dual_mov_b32 v28, v20
	v_dual_mov_b32 v27, v19 :: v_dual_mov_b32 v26, v18
	v_dual_mov_b32 v25, v17 :: v_dual_mov_b32 v24, v16
	v_dual_mov_b32 v16, v218 :: v_dual_mov_b32 v17, v219
	v_dual_mov_b32 v18, v220 :: v_dual_mov_b32 v19, v221
	v_dual_mov_b32 v20, v222 :: v_dual_mov_b32 v21, v223
	ds_load_u16 v200, v117 offset:2976
	s_waitcnt lgkmcnt(11)
	ds_load_u16_d16_hi v154, v117 offset:4800
	ds_load_u16 v177, v117 offset:3104
	ds_load_u16 v186, v117 offset:3200
	;; [unrolled: 1-line block ×7, first 2 shown]
	ds_load_u16_d16_hi v208, v117 offset:3008
	s_waitcnt lgkmcnt(19)
	ds_load_u16_d16_hi v199, v117 offset:2912
	s_waitcnt lgkmcnt(18)
	ds_load_u16_d16_hi v180, v117 offset:3552
	ds_load_u16 v203, v117 offset:2304
	ds_load_u16 v205, v117 offset:2560
	;; [unrolled: 1-line block ×5, first 2 shown]
	s_waitcnt lgkmcnt(22)
	ds_load_u16_d16_hi v189, v117 offset:3648
	ds_load_u16 v188, v117 offset:3456
	ds_load_u16 v187, v117 offset:3328
	s_waitcnt lgkmcnt(20)
	ds_load_u16_d16_hi v185, v117 offset:3136
	v_dual_mov_b32 v22, v224 :: v_dual_mov_b32 v23, v225
	v_dual_mov_b32 v225, v59 :: v_dual_mov_b32 v224, v58
	;; [unrolled: 1-line block ×5, first 2 shown]
	s_waitcnt lgkmcnt(20)
	ds_load_u16_d16_hi v200, v117 offset:3040
	ds_load_u16_d16_hi v182, v117 offset:3808
	ds_load_u16 v197, v117 offset:2592
	ds_load_u16 v207, v117 offset:2816
	;; [unrolled: 1-line block ×9, first 2 shown]
	s_waitcnt lgkmcnt(19)
	ds_load_u16_d16_hi v203, v117 offset:2368
	s_waitcnt lgkmcnt(19)
	ds_load_u16_d16_hi v205, v117 offset:2624
	;; [unrolled: 2-line block ×5, first 2 shown]
	ds_load_u16 v184, v117 offset:4000
	ds_load_u16 v183, v117 offset:3872
	;; [unrolled: 1-line block ×8, first 2 shown]
	ds_load_u16_d16_hi v198, v117 offset:2784
	s_waitcnt lgkmcnt(22)
	ds_load_u16_d16_hi v197, v117 offset:2656
	s_waitcnt lgkmcnt(22)
	;; [unrolled: 2-line block ×7, first 2 shown]
	ds_load_u16_d16_hi v195, v117 offset:2400
	ds_load_u16_d16_hi v186, v117 offset:3264
	;; [unrolled: 1-line block ×6, first 2 shown]
	s_waitcnt lgkmcnt(27)
	ds_load_u16_d16_hi v190, v117 offset:3776
	ds_load_u16_d16_hi v192, v117 offset:4032
	ds_load_u16_d16_hi v187, v117 offset:3392
	s_waitcnt lgkmcnt(23)
	ds_load_u16_d16_hi v184, v117 offset:4064
	s_waitcnt lgkmcnt(23)
	ds_load_u16_d16_hi v183, v117 offset:3936
	ds_load_u16_d16_hi v179, v117 offset:3424
	;; [unrolled: 1-line block ×5, first 2 shown]
	s_waitcnt lgkmcnt(24)
	ds_load_u16_d16_hi v149, v117 offset:4160
	s_waitcnt lgkmcnt(24)
	ds_load_u16_d16_hi v151, v117 offset:4416
	;; [unrolled: 2-line block ×3, first 2 shown]
	.loc	1 104 23                        ; attention_bwd.py:104:23 @[ attention_bwd.py:253:40 ]
	s_waitcnt vmcnt(0) lgkmcnt(19)
	v_wmma_f32_16x16x16_f16 v[168:175], v[201:208], v[36:43], v[168:175]
	s_waitcnt lgkmcnt(17)
	v_wmma_f32_16x16x16_f16 v[160:167], v[193:200], v[36:43], v[160:167]
	.loc	1 102 21                        ; attention_bwd.py:102:21 @[ attention_bwd.py:253:40 ]
	ds_load_u16 v42, v117 offset:7456
	ds_load_u16 v47, v117 offset:8096
	;; [unrolled: 1-line block ×7, first 2 shown]
	.loc	1 104 23                        ; attention_bwd.py:104:23 @[ attention_bwd.py:253:40 ]
	s_waitcnt lgkmcnt(16)
	v_wmma_f32_16x16x16_f16 v[168:175], v[185:192], v[16:23], v[168:175]
	v_dual_mov_b32 v198, v15 :: v_dual_mov_b32 v197, v14
	v_dual_mov_b32 v196, v13 :: v_dual_mov_b32 v195, v12
	s_waitcnt lgkmcnt(12)
	v_wmma_f32_16x16x16_f16 v[160:167], v[177:184], v[16:23], v[160:167]
	v_dual_mov_b32 v184, v103 :: v_dual_mov_b32 v183, v102
	v_dual_mov_b32 v182, v101 :: v_dual_mov_b32 v181, v100
	;; [unrolled: 1-line block ×8, first 2 shown]
	.loc	1 102 21                        ; attention_bwd.py:102:21 @[ attention_bwd.py:253:40 ]
	ds_load_u16 v79, v117 offset:6016
	ds_load_u16 v69, v117 offset:5792
	;; [unrolled: 1-line block ×5, first 2 shown]
	ds_load_u16_d16_hi v35, v117 offset:7616
	s_waitcnt lgkmcnt(12)
	ds_load_u16_d16_hi v42, v117 offset:7520
	ds_load_u16 v44, v117 offset:7712
	s_waitcnt lgkmcnt(13)
	ds_load_u16_d16_hi v47, v117 offset:8160
	ds_load_u16 v39, v117 offset:8064
	ds_load_u16 v38, v117 offset:7936
	ds_load_u16 v37, v117 offset:7808
	s_waitcnt lgkmcnt(13)
	ds_load_u16_d16_hi v36, v117 offset:7744
	ds_load_u16_d16_hi v43, v117 offset:7648
	ds_load_u16 v51, v117 offset:6560
	ds_load_u16 v60, v117 offset:6656
	;; [unrolled: 1-line block ×5, first 2 shown]
	s_waitcnt lgkmcnt(18)
	ds_load_u16_d16_hi v79, v117 offset:6080
	ds_load_u16_d16_hi v70, v117 offset:5984
	ds_load_u16 v48, v117 offset:6176
	ds_load_u16 v57, v117 offset:6272
	;; [unrolled: 1-line block ×7, first 2 shown]
	s_waitcnt lgkmcnt(25)
	ds_load_u16_d16_hi v74, v117 offset:5440
	ds_load_u16 v87, v117 offset:5024
	ds_load_u16 v72, v117 offset:5120
	;; [unrolled: 1-line block ×3, first 2 shown]
	s_waitcnt lgkmcnt(20)
	ds_load_u16_d16_hi v37, v117 offset:7872
	ds_load_u16_d16_hi v44, v117 offset:7776
	s_waitcnt lgkmcnt(19)
	ds_load_u16_d16_hi v51, v117 offset:6624
	s_waitcnt lgkmcnt(19)
	ds_load_u16_d16_hi v60, v117 offset:6720
	ds_load_u16 v59, v117 offset:6528
	ds_load_u16 v58, v117 offset:6400
	;; [unrolled: 1-line block ×3, first 2 shown]
	s_waitcnt lgkmcnt(20)
	ds_load_u16_d16_hi v56, v117 offset:6208
	ds_load_u16_d16_hi v71, v117 offset:6112
	ds_load_u16 v84, v117 offset:4640
	ds_load_u16_d16_hi v53, v117 offset:6880
	ds_load_u16 v61, v117 offset:6784
	ds_load_u16 v49, v117 offset:6304
	s_waitcnt lgkmcnt(22)
	ds_load_u16_d16_hi v57, v117 offset:6336
	ds_load_u16_d16_hi v48, v117 offset:6240
	ds_load_u16 v68, v117 offset:5664
	s_waitcnt lgkmcnt(21)
	ds_load_u16_d16_hi v76, v117 offset:5696
	ds_load_u16_d16_hi v67, v117 offset:5600
	ds_load_u16 v64, v117 offset:5152
	ds_load_u16 v86, v117 offset:4896
	;; [unrolled: 1-line block ×3, first 2 shown]
	ds_load_u16_d16_hi v82, v117 offset:4448
	s_waitcnt lgkmcnt(24)
	ds_load_u16_d16_hi v87, v117 offset:5088
	s_waitcnt lgkmcnt(24)
	ds_load_u16_d16_hi v72, v117 offset:5184
	ds_load_u16_d16_hi v83, v117 offset:4576
	ds_load_u16 v55, v117 offset:7072
	s_waitcnt lgkmcnt(19)
	ds_load_u16_d16_hi v65, v117 offset:5344
	ds_load_u16 v73, v117 offset:5248
	ds_load_u16 v85, v117 offset:4768
	s_waitcnt lgkmcnt(19)
	ds_load_u16_d16_hi v84, v117 offset:4704
	ds_load_u16 v54, v117 offset:6944
	ds_load_u16 v32, v117 offset:7168
	ds_load_u16 v80, v117 offset:4128
	ds_load_u16_d16_hi v46, v117 offset:8032
	ds_load_u16_d16_hi v45, v117 offset:7904
	;; [unrolled: 1-line block ×3, first 2 shown]
	ds_load_u16 v75, v117 offset:5504
	ds_load_u16_d16_hi v38, v117 offset:8000
	ds_load_u16_d16_hi v59, v117 offset:6592
	ds_load_u16 v34, v117 offset:7424
	ds_load_u16 v33, v117 offset:7296
	ds_load_u16_d16_hi v52, v117 offset:6752
	ds_load_u16_d16_hi v62, v117 offset:6976
	s_waitcnt lgkmcnt(31)
	ds_load_u16_d16_hi v61, v117 offset:6848
	ds_load_u16 v40, v117 offset:7200
	s_waitcnt lgkmcnt(19)
	ds_load_u16_d16_hi v55, v117 offset:7136
	ds_load_u16_d16_hi v69, v117 offset:5856
	ds_load_u16_d16_hi v68, v117 offset:5728
	ds_load_u16_d16_hi v78, v117 offset:5952
	ds_load_u16_d16_hi v86, v117 offset:4960
	s_waitcnt lgkmcnt(21)
	ds_load_u16_d16_hi v85, v117 offset:4832
	ds_load_u16_d16_hi v81, v117 offset:4320
	s_waitcnt lgkmcnt(19)
	ds_load_u16_d16_hi v80, v117 offset:4192
	ds_load_u16_d16_hi v77, v117 offset:5824
	;; [unrolled: 1-line block ×4, first 2 shown]
	s_waitcnt lgkmcnt(19)
	ds_load_u16_d16_hi v75, v117 offset:5568
	ds_load_u16_d16_hi v66, v117 offset:5472
	;; [unrolled: 1-line block ×9, first 2 shown]
	s_waitcnt lgkmcnt(25)
	ds_load_u16_d16_hi v34, v117 offset:7488
	s_waitcnt lgkmcnt(25)
	ds_load_u16_d16_hi v33, v117 offset:7360
	;; [unrolled: 2-line block ×3, first 2 shown]
	.loc	1 104 23                        ; attention_bwd.py:104:23 @[ attention_bwd.py:253:40 ]
	v_wmma_f32_16x16x16_f16 v[168:175], v[149:156], v[135:142], v[168:175]
	s_clause 0x2                            ; 24-byte Folded Reload
	scratch_load_b64 v[247:248], off, off offset:648
	scratch_load_b64 v[149:150], off, off offset:616
	;; [unrolled: 1-line block ×3, first 2 shown]
	v_dual_mov_b32 v16, v24 :: v_dual_mov_b32 v17, v25
	s_waitcnt lgkmcnt(15)
	v_wmma_f32_16x16x16_f16 v[160:167], v[80:87], v[135:142], v[160:167]
	v_dual_mov_b32 v151, v210 :: v_dual_mov_b32 v152, v211
	v_dual_mov_b32 v194, v11 :: v_dual_mov_b32 v193, v10
	s_waitcnt lgkmcnt(11)
	v_wmma_f32_16x16x16_f16 v[168:175], v[72:79], v[226:233], v[168:175]
	s_waitcnt lgkmcnt(10)
	v_wmma_f32_16x16x16_f16 v[160:167], v[64:71], v[226:233], v[160:167]
	s_clause 0x1                            ; 32-byte Folded Reload
	scratch_load_b128 v[226:229], off, off offset:36
	scratch_load_b128 v[230:233], off, off offset:52
	v_dual_mov_b32 v79, v96 :: v_dual_mov_b32 v80, v97
	s_waitcnt lgkmcnt(6)
	v_wmma_f32_16x16x16_f16 v[168:175], v[56:63], v[177:184], v[168:175]
	s_waitcnt lgkmcnt(5)
	v_wmma_f32_16x16x16_f16 v[160:167], v[48:55], v[177:184], v[160:167]
	v_dual_mov_b32 v192, v9 :: v_dual_mov_b32 v191, v8
	v_dual_mov_b32 v18, v26 :: v_dual_mov_b32 v19, v27
	;; [unrolled: 1-line block ×10, first 2 shown]
	s_waitcnt lgkmcnt(1)
	v_wmma_f32_16x16x16_f16 v[168:175], v[32:39], v[218:225], v[168:175]
	s_waitcnt lgkmcnt(0)
	v_wmma_f32_16x16x16_f16 v[160:167], v[40:47], v[218:225], v[160:167]
.LBB0_128:
	.loc	1 0 23 is_stmt 0                ; attention_bwd.py:0:23
	v_dual_mov_b32 v177, 0 :: v_dual_mov_b32 v178, 0
	v_dual_mov_b32 v179, 0 :: v_dual_mov_b32 v180, 0
	;; [unrolled: 1-line block ×7, first 2 shown]
	v_mov_b32_e32 v103, 0
	.loc	1 112 24 is_stmt 1              ; attention_bwd.py:112:24 @[ attention_bwd.py:253:40 ]
	s_and_b32 vcc_lo, exec_lo, s2
	s_cbranch_vccnz .LBB0_130
; %bb.129:
	.loc	1 0 24 is_stmt 0                ; attention_bwd.py:0:24
	s_clause 0x3                            ; 64-byte Folded Reload
	scratch_load_b128 v[8:11], off, off offset:520
	scratch_load_b128 v[12:15], off, off offset:536
	;; [unrolled: 1-line block ×4, first 2 shown]
	ds_load_u16 v32, v117 offset:16128
	ds_load_u16 v33, v117 offset:16192
	;; [unrolled: 1-line block ×36, first 2 shown]
	.loc	1 112 24                        ; attention_bwd.py:112:24 @[ attention_bwd.py:253:40 ]
	s_waitcnt lgkmcnt(28)
	v_perm_b32 v53, v61, v53, 0x5040100
	v_perm_b32 v52, v60, v52, 0x5040100
	s_mov_b32 s4, 0
	s_waitcnt lgkmcnt(21)
	v_perm_b32 v59, v58, v57, 0x5040100
	s_mov_b32 s11, s4
	s_mov_b32 s5, s4
	;; [unrolled: 1-line block ×3, first 2 shown]
	s_waitcnt lgkmcnt(12)
	v_perm_b32 v50, v48, v50, 0x5040100
	v_perm_b32 v48, v41, v44, 0x5040100
	s_waitcnt lgkmcnt(10)
	v_perm_b32 v49, v49, v51, 0x5040100
	.loc	1 0 0                           ; attention_bwd.py:0 @[ attention_bwd.py:253:40 ]
	ds_load_u16 v41, v117 offset:9984
	ds_load_u16 v51, v117 offset:10048
	;; [unrolled: 1-line block ×4, first 2 shown]
	.loc	1 112 24                        ; attention_bwd.py:112:24 @[ attention_bwd.py:253:40 ]
	s_mov_b32 s7, s4
	s_waitcnt lgkmcnt(11)
	v_perm_b32 v44, v38, v39, 0x5040100
	s_mov_b32 s8, s4
	s_mov_b32 s9, s4
	;; [unrolled: 1-line block ×3, first 2 shown]
	s_delay_alu instid0(SALU_CYCLE_1)
	v_dual_mov_b32 v103, s11 :: v_dual_mov_b32 v102, s10
	v_perm_b32 v58, v64, v56, 0x5040100
	s_waitcnt lgkmcnt(4)
	v_perm_b32 v47, v46, v47, 0x5040100
	v_perm_b32 v46, v40, v43, 0x5040100
	;; [unrolled: 1-line block ×3, first 2 shown]
	.loc	1 0 0                           ; attention_bwd.py:0 @[ attention_bwd.py:253:40 ]
	ds_load_u16 v36, v117 offset:9856
	ds_load_u16 v37, v117 offset:9920
	;; [unrolled: 1-line block ×4, first 2 shown]
	.loc	1 112 24                        ; attention_bwd.py:112:24 @[ attention_bwd.py:253:40 ]
	v_perm_b32 v57, v66, v65, 0x5040100
	v_perm_b32 v56, v68, v67, 0x5040100
	;; [unrolled: 1-line block ×5, first 2 shown]
	v_dual_mov_b32 v101, s9 :: v_dual_mov_b32 v100, s8
	v_dual_mov_b32 v99, s7 :: v_dual_mov_b32 v98, s6
	;; [unrolled: 1-line block ×3, first 2 shown]
	s_waitcnt lgkmcnt(6)
	v_perm_b32 v42, v51, v41, 0x5040100
	v_dual_mov_b32 v142, v126 :: v_dual_mov_b32 v141, v125
	v_dual_mov_b32 v140, v124 :: v_dual_mov_b32 v139, v123
	v_wmma_f32_16x16x16_f16 v[176:183], v[52:59], v[151:158], v[96:103]
	v_wmma_f32_16x16x16_f16 v[96:103], v[43:50], v[151:158], v[96:103]
	.loc	1 0 0                           ; attention_bwd.py:0 @[ attention_bwd.py:253:40 ]
	ds_load_u16 v44, v117 offset:9600
	ds_load_u16 v45, v117 offset:9664
	;; [unrolled: 1-line block ×19, first 2 shown]
	.loc	1 112 24                        ; attention_bwd.py:112:24 @[ attention_bwd.py:253:40 ]
	s_waitcnt lgkmcnt(23)
	v_perm_b32 v43, v61, v60, 0x5040100
	.loc	1 0 0                           ; attention_bwd.py:0 @[ attention_bwd.py:253:40 ]
	ds_load_u16 v60, v117 offset:10016
	ds_load_u16 v61, v117 offset:9952
	;; [unrolled: 1-line block ×5, first 2 shown]
	.loc	1 112 24                        ; attention_bwd.py:112:24 @[ attention_bwd.py:253:40 ]
	s_waitcnt lgkmcnt(26)
	v_perm_b32 v41, v37, v36, 0x5040100
	s_waitcnt lgkmcnt(24)
	v_perm_b32 v40, v39, v38, 0x5040100
	;; [unrolled: 2-line block ×5, first 2 shown]
	v_dual_mov_b32 v138, v122 :: v_dual_mov_b32 v137, v121
	s_waitcnt lgkmcnt(16)
	v_perm_b32 v37, v52, v50, 0x5040100
	.loc	1 0 0                           ; attention_bwd.py:0 @[ attention_bwd.py:253:40 ]
	ds_load_u16 v44, v117 offset:10240
	ds_load_u16 v45, v117 offset:10304
	ds_load_u16 v46, v117 offset:10368
	ds_load_u16 v47, v117 offset:10432
	ds_load_u16 v48, v117 offset:10464
	ds_load_u16 v49, v117 offset:10400
	ds_load_u16 v50, v117 offset:10336
	ds_load_u16 v51, v117 offset:10272
	v_dual_mov_b32 v136, v120 :: v_dual_mov_b32 v135, v119
	v_dual_mov_b32 v126, v95 :: v_dual_mov_b32 v125, v94
	.loc	1 112 24                        ; attention_bwd.py:112:24 @[ attention_bwd.py:253:40 ]
	v_wmma_f32_16x16x16_f16 v[176:183], v[36:43], v[104:111], v[176:183]
	s_waitcnt lgkmcnt(18)
	v_perm_b32 v39, v57, v58, 0x5040100
	s_waitcnt lgkmcnt(16)
	v_perm_b32 v38, v59, v62, 0x5040100
	.loc	1 0 0                           ; attention_bwd.py:0 @[ attention_bwd.py:253:40 ]
	ds_load_u16 v52, v117 offset:11008
	ds_load_u16 v57, v117 offset:11136
	;; [unrolled: 1-line block ×4, first 2 shown]
	.loc	1 112 24                        ; attention_bwd.py:112:24 @[ attention_bwd.py:253:40 ]
	s_waitcnt lgkmcnt(18)
	v_perm_b32 v43, v63, v64, 0x5040100
	s_waitcnt lgkmcnt(16)
	v_perm_b32 v42, v65, v60, 0x5040100
	s_waitcnt lgkmcnt(14)
	v_perm_b32 v41, v61, v66, 0x5040100
	s_waitcnt lgkmcnt(12)
	v_perm_b32 v40, v67, v68, 0x5040100
	v_perm_b32 v37, v53, v54, 0x5040100
	v_perm_b32 v36, v55, v56, 0x5040100
	.loc	1 0 0                           ; attention_bwd.py:0 @[ attention_bwd.py:253:40 ]
	ds_load_u16 v53, v117 offset:10880
	ds_load_u16 v54, v117 offset:10944
	;; [unrolled: 1-line block ×20, first 2 shown]
	v_dual_mov_b32 v124, v93 :: v_dual_mov_b32 v123, v92
	.loc	1 112 24                        ; attention_bwd.py:112:24 @[ attention_bwd.py:253:40 ]
	v_wmma_f32_16x16x16_f16 v[96:103], v[36:43], v[104:111], v[96:103]
	s_waitcnt lgkmcnt(28)
	v_perm_b32 v37, v47, v46, 0x5040100
	v_perm_b32 v36, v45, v44, 0x5040100
	v_dual_mov_b32 v122, v91 :: v_dual_mov_b32 v121, v90
	v_dual_mov_b32 v120, v89 :: v_dual_mov_b32 v119, v88
	s_waitcnt lgkmcnt(18)
	v_perm_b32 v41, v54, v53, 0x5040100
	v_perm_b32 v43, v58, v57, 0x5040100
	;; [unrolled: 1-line block ×3, first 2 shown]
	s_waitcnt lgkmcnt(16)
	v_perm_b32 v40, v56, v55, 0x5040100
	s_waitcnt lgkmcnt(14)
	v_perm_b32 v38, v61, v60, 0x5040100
	;; [unrolled: 2-line block ×3, first 2 shown]
	.loc	1 0 0                           ; attention_bwd.py:0 @[ attention_bwd.py:253:40 ]
	ds_load_u16 v52, v117 offset:11264
	ds_load_u16 v53, v117 offset:11328
	;; [unrolled: 1-line block ×24, first 2 shown]
	.loc	1 112 24                        ; attention_bwd.py:112:24 @[ attention_bwd.py:253:40 ]
	v_wmma_f32_16x16x16_f16 v[176:183], v[36:43], v[79:86], v[176:183]
	s_waitcnt lgkmcnt(26)
	v_perm_b32 v43, v72, v73, 0x5040100
	s_waitcnt lgkmcnt(24)
	v_perm_b32 v42, v74, v75, 0x5040100
	v_perm_b32 v41, v68, v69, 0x5040100
	;; [unrolled: 1-line block ×5, first 2 shown]
	.loc	1 0 0                           ; attention_bwd.py:0 @[ attention_bwd.py:253:40 ]
	ds_load_u16 v64, v117 offset:12032
	ds_load_u16 v65, v117 offset:12160
	;; [unrolled: 1-line block ×12, first 2 shown]
	.loc	1 112 24                        ; attention_bwd.py:112:24 @[ attention_bwd.py:253:40 ]
	v_perm_b32 v37, v48, v49, 0x5040100
	v_perm_b32 v36, v50, v51, 0x5040100
	.loc	1 0 0                           ; attention_bwd.py:0 @[ attention_bwd.py:253:40 ]
	ds_load_u16 v48, v117 offset:12256
	ds_load_u16 v49, v117 offset:12192
	;; [unrolled: 1-line block ×12, first 2 shown]
	.loc	1 112 24                        ; attention_bwd.py:112:24 @[ attention_bwd.py:253:40 ]
	v_wmma_f32_16x16x16_f16 v[96:103], v[36:43], v[79:86], v[96:103]
	.loc	1 0 0                           ; attention_bwd.py:0 @[ attention_bwd.py:253:40 ]
	ds_load_u16 v76, v117 offset:12288
	ds_load_u16 v77, v117 offset:12352
	;; [unrolled: 1-line block ×8, first 2 shown]
	.loc	1 112 24                        ; attention_bwd.py:112:24 @[ attention_bwd.py:253:40 ]
	s_waitcnt lgkmcnt(44)
	v_perm_b32 v39, v47, v46, 0x5040100
	v_perm_b32 v38, v45, v44, 0x5040100
	s_waitcnt lgkmcnt(29)
	v_perm_b32 v43, v66, v65, 0x5040100
	s_waitcnt lgkmcnt(28)
	v_perm_b32 v42, v67, v64, 0x5040100
	v_perm_b32 v37, v55, v54, 0x5040100
	s_waitcnt lgkmcnt(26)
	v_perm_b32 v40, v69, v68, 0x5040100
	;; [unrolled: 3-line block ×3, first 2 shown]
	.loc	1 0 0                           ; attention_bwd.py:0 @[ attention_bwd.py:253:40 ]
	ds_load_u16 v64, v117 offset:12544
	ds_load_u16 v65, v117 offset:12608
	;; [unrolled: 1-line block ×20, first 2 shown]
	.loc	1 112 24                        ; attention_bwd.py:112:24 @[ attention_bwd.py:253:40 ]
	v_wmma_f32_16x16x16_f16 v[176:183], v[36:43], v[239:246], v[176:183]
	s_waitcnt lgkmcnt(38)
	v_perm_b32 v43, v48, v49, 0x5040100
	s_waitcnt lgkmcnt(36)
	v_perm_b32 v42, v50, v51, 0x5040100
	v_perm_b32 v41, v72, v73, 0x5040100
	;; [unrolled: 1-line block ×3, first 2 shown]
	.loc	1 0 0                           ; attention_bwd.py:0 @[ attention_bwd.py:253:40 ]
	ds_load_u16 v48, v117 offset:13056
	ds_load_u16 v49, v117 offset:13120
	;; [unrolled: 1-line block ×8, first 2 shown]
	.loc	1 112 24                        ; attention_bwd.py:112:24 @[ attention_bwd.py:253:40 ]
	v_perm_b32 v39, v60, v61, 0x5040100
	v_perm_b32 v38, v62, v63, 0x5040100
	v_perm_b32 v37, v56, v57, 0x5040100
	v_perm_b32 v36, v58, v59, 0x5040100
	.loc	1 0 0                           ; attention_bwd.py:0 @[ attention_bwd.py:253:40 ]
	ds_load_u16 v56, v117 offset:13312
	ds_load_u16 v57, v117 offset:13376
	;; [unrolled: 1-line block ×8, first 2 shown]
	.loc	1 112 24                        ; attention_bwd.py:112:24 @[ attention_bwd.py:253:40 ]
	v_wmma_f32_16x16x16_f16 v[96:103], v[36:43], v[239:246], v[96:103]
	s_waitcnt lgkmcnt(32)
	v_perm_b32 v39, v67, v66, 0x5040100
	v_perm_b32 v38, v65, v64, 0x5040100
	;; [unrolled: 1-line block ×4, first 2 shown]
	.loc	1 0 0                           ; attention_bwd.py:0 @[ attention_bwd.py:253:40 ]
	ds_load_u16 v64, v117 offset:14080
	ds_load_u16 v65, v117 offset:14144
	;; [unrolled: 1-line block ×8, first 2 shown]
	.loc	1 112 24                        ; attention_bwd.py:112:24 @[ attention_bwd.py:253:40 ]
	s_waitcnt lgkmcnt(22)
	v_perm_b32 v42, v49, v48, 0x5040100
	s_waitcnt lgkmcnt(20)
	v_perm_b32 v43, v51, v50, 0x5040100
	v_perm_b32 v41, v47, v46, 0x5040100
	;; [unrolled: 1-line block ×3, first 2 shown]
	.loc	1 0 0                           ; attention_bwd.py:0 @[ attention_bwd.py:253:40 ]
	ds_load_u16 v44, v117 offset:13824
	ds_load_u16 v45, v117 offset:13888
	;; [unrolled: 1-line block ×8, first 2 shown]
	.loc	1 112 24                        ; attention_bwd.py:112:24 @[ attention_bwd.py:253:40 ]
	s_waitcnt vmcnt(2)
	v_wmma_f32_16x16x16_f16 v[176:183], v[36:43], v[8:15], v[176:183]
	s_waitcnt lgkmcnt(26)
	v_perm_b32 v43, v72, v73, 0x5040100
	s_waitcnt lgkmcnt(24)
	v_perm_b32 v42, v74, v75, 0x5040100
	v_perm_b32 v41, v52, v53, 0x5040100
	;; [unrolled: 1-line block ×7, first 2 shown]
	.loc	1 0 0                           ; attention_bwd.py:0 @[ attention_bwd.py:253:40 ]
	ds_load_u16 v52, v117 offset:14336
	ds_load_u16 v53, v117 offset:14400
	;; [unrolled: 1-line block ×16, first 2 shown]
	.loc	1 112 24                        ; attention_bwd.py:112:24 @[ attention_bwd.py:253:40 ]
	v_wmma_f32_16x16x16_f16 v[96:103], v[36:43], v[8:15], v[96:103]
	s_waitcnt lgkmcnt(28)
	v_perm_b32 v43, v67, v66, 0x5040100
	v_perm_b32 v42, v65, v64, 0x5040100
	.loc	1 0 0                           ; attention_bwd.py:0 @[ attention_bwd.py:253:40 ]
	ds_load_u16 v64, v117 offset:15104
	ds_load_u16 v65, v117 offset:15168
	;; [unrolled: 1-line block ×4, first 2 shown]
	.loc	1 112 24                        ; attention_bwd.py:112:24 @[ attention_bwd.py:253:40 ]
	s_waitcnt lgkmcnt(24)
	v_perm_b32 v41, v47, v46, 0x5040100
	v_perm_b32 v40, v45, v44, 0x5040100
	;; [unrolled: 1-line block ×6, first 2 shown]
	.loc	1 0 0                           ; attention_bwd.py:0 @[ attention_bwd.py:253:40 ]
	ds_load_u16 v56, v117 offset:15360
	ds_load_u16 v57, v117 offset:15424
	;; [unrolled: 1-line block ×8, first 2 shown]
	.loc	1 112 24                        ; attention_bwd.py:112:24 @[ attention_bwd.py:253:40 ]
	v_perm_b32 v47, v35, v34, 0x5040100
	v_perm_b32 v46, v33, v32, 0x5040100
	v_wmma_f32_16x16x16_f16 v[176:183], v[36:43], v[135:142], v[176:183]
	v_perm_b32 v41, v95, v94, 0x5040100
	v_perm_b32 v40, v93, v92, 0x5040100
	s_waitcnt lgkmcnt(16)
	v_perm_b32 v39, v71, v70, 0x5040100
	v_perm_b32 v38, v69, v68, 0x5040100
	;; [unrolled: 1-line block ×4, first 2 shown]
	s_waitcnt lgkmcnt(10)
	v_perm_b32 v42, v65, v64, 0x5040100
	.loc	1 0 0                           ; attention_bwd.py:0 @[ attention_bwd.py:253:40 ]
	ds_load_u16 v44, v117 offset:15872
	ds_load_u16 v52, v117 offset:15936
	;; [unrolled: 1-line block ×8, first 2 shown]
	.loc	1 112 24                        ; attention_bwd.py:112:24 @[ attention_bwd.py:253:40 ]
	s_waitcnt lgkmcnt(16)
	v_perm_b32 v43, v67, v66, 0x5040100
	.loc	1 0 0                           ; attention_bwd.py:0 @[ attention_bwd.py:253:40 ]
	ds_load_u16 v64, v117 offset:15616
	ds_load_u16 v65, v117 offset:15680
	;; [unrolled: 1-line block ×8, first 2 shown]
	.loc	1 112 24                        ; attention_bwd.py:112:24 @[ attention_bwd.py:253:40 ]
	v_perm_b32 v35, v80, v81, 0x5040100
	v_perm_b32 v34, v82, v83, 0x5040100
	;; [unrolled: 1-line block ×3, first 2 shown]
	s_waitcnt vmcnt(0)
	v_wmma_f32_16x16x16_f16 v[176:183], v[36:43], v[127:134], v[176:183]
	v_perm_b32 v43, v76, v77, 0x5040100
	.loc	1 0 0                           ; attention_bwd.py:0 @[ attention_bwd.py:253:40 ]
	ds_load_u16 v70, v117 offset:16352
	ds_load_u16 v71, v117 offset:16288
	;; [unrolled: 1-line block ×4, first 2 shown]
	.loc	1 112 24                        ; attention_bwd.py:112:24 @[ attention_bwd.py:253:40 ]
	v_perm_b32 v42, v78, v79, 0x5040100
	v_perm_b32 v41, v48, v49, 0x5040100
	;; [unrolled: 1-line block ×8, first 2 shown]
	s_waitcnt lgkmcnt(16)
	v_perm_b32 v45, v53, v45, 0x5040100
	v_perm_b32 v44, v52, v44, 0x5040100
	v_wmma_f32_16x16x16_f16 v[96:103], v[36:43], v[135:142], v[96:103]
	v_perm_b32 v39, v108, v109, 0x5040100
	v_perm_b32 v38, v110, v111, 0x5040100
	;; [unrolled: 1-line block ×4, first 2 shown]
	s_waitcnt lgkmcnt(8)
	v_perm_b32 v43, v67, v66, 0x5040100
	v_perm_b32 v42, v65, v64, 0x5040100
	;; [unrolled: 1-line block ×4, first 2 shown]
	v_wmma_f32_16x16x16_f16 v[96:103], v[32:39], v[127:134], v[96:103]
	s_waitcnt lgkmcnt(2)
	v_perm_b32 v39, v70, v71, 0x5040100
	s_waitcnt lgkmcnt(0)
	v_perm_b32 v38, v76, v77, 0x5040100
	v_perm_b32 v37, v54, v55, 0x5040100
	v_perm_b32 v36, v68, v69, 0x5040100
	v_perm_b32 v35, v92, v93, 0x5040100
	v_perm_b32 v34, v94, v95, 0x5040100
	v_perm_b32 v33, v84, v85, 0x5040100
	v_perm_b32 v32, v86, v87, 0x5040100
	v_wmma_f32_16x16x16_f16 v[176:183], v[40:47], v[119:126], v[176:183]
	s_delay_alu instid0(VALU_DEP_2)
	v_wmma_f32_16x16x16_f16 v[96:103], v[32:39], v[119:126], v[96:103]
.LBB0_130:
	.loc	1 0 0                           ; attention_bwd.py:0 @[ attention_bwd.py:253:40 ]
	ds_load_b128 v[88:91], v116
	ds_load_b128 v[92:95], v116 offset:16
	ds_load_b128 v[36:39], v116 offset:48
	;; [unrolled: 1-line block ×15, first 2 shown]
	.loc	1 105 30 is_stmt 1              ; attention_bwd.py:105:30 @[ attention_bwd.py:253:40 ]
	v_dual_sub_f32 v104, v168, v113 :: v_dual_sub_f32 v123, v177, v114
	v_dual_sub_f32 v105, v169, v113 :: v_dual_sub_f32 v122, v176, v114
	;; [unrolled: 1-line block ×15, first 2 shown]
	v_sub_f32_e32 v113, v167, v113
	.loc	1 105 25 is_stmt 0              ; attention_bwd.py:105:25 @[ attention_bwd.py:253:40 ]
	v_exp_f32_e32 v104, v104
	v_exp_f32_e32 v105, v105
	;; [unrolled: 1-line block ×5, first 2 shown]
	.loc	1 113 23 is_stmt 1              ; attention_bwd.py:113:23 @[ attention_bwd.py:253:40 ]
	v_sub_f32_e32 v101, v101, v114
	.loc	1 105 25                        ; attention_bwd.py:105:25 @[ attention_bwd.py:253:40 ]
	v_exp_f32_e32 v109, v109
	v_exp_f32_e32 v110, v110
	;; [unrolled: 1-line block ×11, first 2 shown]
	.loc	1 114 19                        ; attention_bwd.py:114:19 @[ attention_bwd.py:253:40 ]
	v_fma_mixlo_f16 v104, v104, v122, 0
	v_fma_mixlo_f16 v105, v105, v123, 0
	;; [unrolled: 1-line block ×3, first 2 shown]
	.loc	1 117 25                        ; attention_bwd.py:117:25 @[ attention_bwd.py:253:40 ]
	s_and_b32 vcc_lo, exec_lo, s2
	.loc	1 114 19                        ; attention_bwd.py:114:19 @[ attention_bwd.py:253:40 ]
	v_fma_mixlo_f16 v107, v107, v125, 0
	v_fma_mixlo_f16 v108, v108, v126, 0
	;; [unrolled: 1-line block ×13, first 2 shown]
	ds_store_b16 v118, v104 offset:16384
	ds_store_b16 v118, v105 offset:16640
	;; [unrolled: 1-line block ×16, first 2 shown]
	s_waitcnt vmcnt(0) lgkmcnt(0)
	s_waitcnt_vscnt null, 0x0
	s_barrier
	buffer_gl0_inv
	.loc	1 117 25                        ; attention_bwd.py:117:25 @[ attention_bwd.py:253:40 ]
	s_cbranch_vccnz .LBB0_132
; %bb.131:
	.loc	1 114 19                        ; attention_bwd.py:114:19 @[ attention_bwd.py:253:40 ]
	ds_load_u16 v103, v209 offset:18176
	ds_load_u16 v102, v209 offset:17920
	;; [unrolled: 1-line block ×16, first 2 shown]
	s_waitcnt lgkmcnt(15)
	ds_load_u16_d16_hi v103, v209 offset:18304
	s_waitcnt lgkmcnt(15)
	ds_load_u16_d16_hi v102, v209 offset:18048
	;; [unrolled: 2-line block ×16, first 2 shown]
	.loc	1 117 25                        ; attention_bwd.py:117:25 @[ attention_bwd.py:253:40 ]
	s_waitcnt lgkmcnt(8)
	v_wmma_f32_16x16x16_f16 v[0:7], v[88:95], v[96:103], v[0:7]
	v_wmma_f32_16x16x16_f16 v[16:23], v[80:87], v[96:103], v[16:23]
	;; [unrolled: 1-line block ×4, first 2 shown]
	s_waitcnt lgkmcnt(0)
	v_wmma_f32_16x16x16_f16 v[0:7], v[32:39], v[104:111], v[0:7]
	v_wmma_f32_16x16x16_f16 v[16:23], v[48:55], v[104:111], v[16:23]
	;; [unrolled: 1-line block ×4, first 2 shown]
.Ltmp30:
.LBB0_132:                              ; %._crit_edge372
	.loc	1 0 25 is_stmt 0                ; attention_bwd.py:0:25
	s_clause 0x1                            ; 16-byte Folded Reload
	scratch_load_b64 v[8:9], off, off offset:680
	scratch_load_b64 v[72:73], off, off offset:776
	.loc	1 152 10 is_stmt 1              ; attention_bwd.py:152:10
	s_add_u32 s0, s44, s34
	s_addc_u32 s1, s45, s35
	.loc	1 257 19                        ; attention_bwd.py:257:19
	v_add_co_u32 v94, vcc_lo, s0, v236
	s_delay_alu instid0(VALU_DEP_1) | instskip(SKIP_2) | instid1(VALU_DEP_1)
	v_add_co_ci_u32_e64 v95, null, s1, v237, vcc_lo
	s_mov_b32 s0, 0x3f317218
	.loc	1 257 50 is_stmt 0              ; attention_bwd.py:257:50
	v_add_co_u32 v32, vcc_lo, v94, v149
	v_add_co_ci_u32_e64 v33, null, v95, v150, vcc_lo
	v_add_co_u32 v34, vcc_lo, v94, v247
	s_delay_alu instid0(VALU_DEP_1)
	v_add_co_ci_u32_e64 v35, null, v95, v248, vcc_lo
	.loc	1 259 22 is_stmt 1              ; attention_bwd.py:259:22
	v_fma_mixlo_f16 v10, v2, s0, 0
	v_fma_mixlo_f16 v11, v3, s0, 0
	;; [unrolled: 1-line block ×28, first 2 shown]
	s_clause 0xa                            ; 88-byte Folded Reload
	scratch_load_b64 v[74:75], off, off offset:784
	scratch_load_b64 v[76:77], off, off offset:792
	;; [unrolled: 1-line block ×11, first 2 shown]
	.loc	1 257 50                        ; attention_bwd.py:257:50
	s_waitcnt vmcnt(12)
	v_add_co_u32 v36, vcc_lo, v94, v8
	s_delay_alu instid0(VALU_DEP_1) | instskip(SKIP_3) | instid1(VALU_DEP_1)
	v_add_co_ci_u32_e64 v37, null, v95, v9, vcc_lo
	scratch_load_b64 v[8:9], off, off offset:688 ; 8-byte Folded Reload
	s_waitcnt vmcnt(0)
	v_add_co_u32 v38, vcc_lo, v94, v8
	v_add_co_ci_u32_e64 v39, null, v95, v9, vcc_lo
	scratch_load_b64 v[8:9], off, off offset:696 ; 8-byte Folded Reload
	s_waitcnt vmcnt(0)
	v_add_co_u32 v40, vcc_lo, v94, v8
	s_delay_alu instid0(VALU_DEP_1) | instskip(SKIP_3) | instid1(VALU_DEP_1)
	v_add_co_ci_u32_e64 v41, null, v95, v9, vcc_lo
	scratch_load_b64 v[8:9], off, off offset:704 ; 8-byte Folded Reload
	s_waitcnt vmcnt(0)
	v_add_co_u32 v42, vcc_lo, v94, v8
	v_add_co_ci_u32_e64 v43, null, v95, v9, vcc_lo
	scratch_load_b64 v[8:9], off, off offset:712 ; 8-byte Folded Reload
	s_waitcnt vmcnt(0)
	v_add_co_u32 v44, vcc_lo, v94, v8
	s_delay_alu instid0(VALU_DEP_1) | instskip(SKIP_3) | instid1(VALU_DEP_1)
	v_add_co_ci_u32_e64 v45, null, v95, v9, vcc_lo
	scratch_load_b64 v[8:9], off, off offset:720 ; 8-byte Folded Reload
	s_waitcnt vmcnt(0)
	v_add_co_u32 v46, vcc_lo, v94, v8
	v_add_co_ci_u32_e64 v47, null, v95, v9, vcc_lo
	scratch_load_b64 v[8:9], off, off offset:728 ; 8-byte Folded Reload
	s_waitcnt vmcnt(0)
	v_add_co_u32 v48, vcc_lo, v94, v8
	s_delay_alu instid0(VALU_DEP_1) | instskip(SKIP_3) | instid1(VALU_DEP_1)
	v_add_co_ci_u32_e64 v49, null, v95, v9, vcc_lo
	scratch_load_b64 v[8:9], off, off offset:736 ; 8-byte Folded Reload
	s_waitcnt vmcnt(0)
	v_add_co_u32 v50, vcc_lo, v94, v8
	v_add_co_ci_u32_e64 v51, null, v95, v9, vcc_lo
	scratch_load_b64 v[8:9], off, off offset:744 ; 8-byte Folded Reload
	s_waitcnt vmcnt(0)
	v_add_co_u32 v52, vcc_lo, v94, v8
	s_delay_alu instid0(VALU_DEP_1) | instskip(SKIP_3) | instid1(VALU_DEP_1)
	v_add_co_ci_u32_e64 v53, null, v95, v9, vcc_lo
	scratch_load_b64 v[8:9], off, off offset:752 ; 8-byte Folded Reload
	s_waitcnt vmcnt(0)
	v_add_co_u32 v54, vcc_lo, v94, v8
	v_add_co_ci_u32_e64 v55, null, v95, v9, vcc_lo
	scratch_load_b64 v[8:9], off, off offset:760 ; 8-byte Folded Reload
	s_waitcnt vmcnt(0)
	v_add_co_u32 v56, vcc_lo, v94, v8
	s_delay_alu instid0(VALU_DEP_1) | instskip(SKIP_3) | instid1(VALU_DEP_1)
	v_add_co_ci_u32_e64 v57, null, v95, v9, vcc_lo
	scratch_load_b64 v[8:9], off, off offset:768 ; 8-byte Folded Reload
	s_waitcnt vmcnt(0)
	v_add_co_u32 v58, vcc_lo, v94, v8
	v_add_co_ci_u32_e64 v59, null, v95, v9, vcc_lo
	v_add_co_u32 v60, vcc_lo, v94, v147
	s_delay_alu instid0(VALU_DEP_1) | instskip(SKIP_1) | instid1(VALU_DEP_1)
	v_add_co_ci_u32_e64 v61, null, v95, v148, vcc_lo
	v_add_co_u32 v62, vcc_lo, v94, v143
	v_add_co_ci_u32_e64 v63, null, v95, v144, vcc_lo
	v_add_co_u32 v64, vcc_lo, v94, v145
	s_delay_alu instid0(VALU_DEP_1) | instskip(SKIP_1) | instid1(VALU_DEP_1)
	v_add_co_ci_u32_e64 v65, null, v95, v146, vcc_lo
	;; [unrolled: 5-line block ×7, first 2 shown]
	v_add_co_u32 v86, vcc_lo, v94, v86
	v_add_co_ci_u32_e64 v87, null, v95, v87, vcc_lo
	v_add_co_u32 v88, vcc_lo, v94, v88
	s_delay_alu instid0(VALU_DEP_1)
	v_add_co_ci_u32_e64 v89, null, v95, v89, vcc_lo
	v_add_co_u32 v90, vcc_lo, v94, v90
	.loc	1 259 22                        ; attention_bwd.py:259:22
	v_fma_mixlo_f16 v8, v0, s0, 0
	.loc	1 257 50                        ; attention_bwd.py:257:50
	v_add_co_ci_u32_e64 v91, null, v95, v91, vcc_lo
	v_add_co_u32 v92, vcc_lo, v94, v92
	.loc	1 259 22                        ; attention_bwd.py:259:22
	v_fma_mixlo_f16 v9, v1, s0, 0
	.loc	1 257 50                        ; attention_bwd.py:257:50
	v_add_co_ci_u32_e64 v93, null, v95, v93, vcc_lo
	v_add_co_u32 v94, vcc_lo, v94, v96
	s_delay_alu instid0(VALU_DEP_1)
	v_add_co_ci_u32_e64 v95, null, v95, v97, vcc_lo
	.loc	1 259 22                        ; attention_bwd.py:259:22
	v_fma_mixlo_f16 v0, v226, s0, 0
	v_fma_mixlo_f16 v1, v227, s0, 0
	s_clause 0x1f
	global_store_b16 v[32:33], v8, off
	global_store_b16 v[34:35], v9, off
	;; [unrolled: 1-line block ×32, first 2 shown]
	.loc	1 259 4 is_stmt 0               ; attention_bwd.py:259:4
	s_nop 0
	s_sendmsg sendmsg(MSG_DEALLOC_VGPRS)
	s_endpgm
.LBB0_133:
.Ltmp31:
	.loc	1 93 49 is_stmt 1               ; attention_bwd.py:93:49 @[ attention_bwd.py:253:40 ]
	s_waitcnt vmcnt(6)
	v_add_co_u32 v2, vcc_lo, v0, v48
	s_delay_alu instid0(VALU_DEP_1)
	v_add_co_ci_u32_e64 v3, null, v1, v49, vcc_lo
	.loc	1 102 21                        ; attention_bwd.py:102:21 @[ attention_bwd.py:253:40 ]
	global_load_u16 v7, v[2:3], off
	s_and_b32 vcc_lo, exec_lo, s2
	s_cbranch_vccnz .LBB0_84
.LBB0_134:
	.loc	1 93 49                         ; attention_bwd.py:93:49 @[ attention_bwd.py:253:40 ]
	s_waitcnt vmcnt(5)
	v_add_co_u32 v2, vcc_lo, v0, v62
	s_delay_alu instid0(VALU_DEP_1)
	v_add_co_ci_u32_e64 v3, null, v1, v63, vcc_lo
	.loc	1 102 21                        ; attention_bwd.py:102:21 @[ attention_bwd.py:253:40 ]
	global_load_u16 v6, v[2:3], off
	v_dual_mov_b32 v8, 0 :: v_dual_mov_b32 v9, 0
	s_and_b32 vcc_lo, exec_lo, s2
	s_cbranch_vccnz .LBB0_85
.LBB0_135:
	.loc	1 93 49                         ; attention_bwd.py:93:49 @[ attention_bwd.py:253:40 ]
	s_waitcnt vmcnt(4)
	v_add_co_u32 v2, vcc_lo, v0, v64
	s_delay_alu instid0(VALU_DEP_1)
	v_add_co_ci_u32_e64 v3, null, v1, v65, vcc_lo
	.loc	1 102 21                        ; attention_bwd.py:102:21 @[ attention_bwd.py:253:40 ]
	global_load_u16 v9, v[2:3], off
	s_and_b32 vcc_lo, exec_lo, s2
	s_cbranch_vccnz .LBB0_86
.LBB0_136:
	.loc	1 93 49                         ; attention_bwd.py:93:49 @[ attention_bwd.py:253:40 ]
	s_waitcnt vmcnt(3)
	v_add_co_u32 v2, vcc_lo, v0, v66
	s_delay_alu instid0(VALU_DEP_1)
	v_add_co_ci_u32_e64 v3, null, v1, v67, vcc_lo
	.loc	1 102 21                        ; attention_bwd.py:102:21 @[ attention_bwd.py:253:40 ]
	global_load_u16 v8, v[2:3], off
	v_dual_mov_b32 v10, 0 :: v_dual_mov_b32 v11, 0
	s_and_b32 vcc_lo, exec_lo, s2
	s_cbranch_vccnz .LBB0_87
.LBB0_137:
	.loc	1 93 49                         ; attention_bwd.py:93:49 @[ attention_bwd.py:253:40 ]
	s_waitcnt vmcnt(2)
	v_add_co_u32 v2, vcc_lo, v0, v68
	s_delay_alu instid0(VALU_DEP_1)
	v_add_co_ci_u32_e64 v3, null, v1, v69, vcc_lo
	.loc	1 102 21                        ; attention_bwd.py:102:21 @[ attention_bwd.py:253:40 ]
	global_load_u16 v11, v[2:3], off
	s_and_b32 vcc_lo, exec_lo, s2
	s_cbranch_vccnz .LBB0_88
.LBB0_138:
	.loc	1 93 49                         ; attention_bwd.py:93:49 @[ attention_bwd.py:253:40 ]
	s_waitcnt vmcnt(1)
	v_add_co_u32 v2, vcc_lo, v0, v70
	s_delay_alu instid0(VALU_DEP_1)
	v_add_co_ci_u32_e64 v3, null, v1, v71, vcc_lo
	.loc	1 102 21                        ; attention_bwd.py:102:21 @[ attention_bwd.py:253:40 ]
	global_load_u16 v10, v[2:3], off
	v_dual_mov_b32 v12, 0 :: v_dual_mov_b32 v13, 0
	s_and_b32 vcc_lo, exec_lo, s2
	s_cbranch_vccnz .LBB0_89
.LBB0_139:
	.loc	1 93 49                         ; attention_bwd.py:93:49 @[ attention_bwd.py:253:40 ]
	s_waitcnt vmcnt(0)
	v_add_co_u32 v2, vcc_lo, v0, v60
	s_delay_alu instid0(VALU_DEP_1)
	v_add_co_ci_u32_e64 v3, null, v1, v61, vcc_lo
	.loc	1 102 21                        ; attention_bwd.py:102:21 @[ attention_bwd.py:253:40 ]
	global_load_u16 v13, v[2:3], off
	s_and_b32 vcc_lo, exec_lo, s2
	s_cbranch_vccnz .LBB0_90
.LBB0_140:
	.loc	1 93 49                         ; attention_bwd.py:93:49 @[ attention_bwd.py:253:40 ]
	v_add_co_u32 v2, vcc_lo, v0, v177
	s_delay_alu instid0(VALU_DEP_1)
	v_add_co_ci_u32_e64 v3, null, v1, v178, vcc_lo
	.loc	1 102 21                        ; attention_bwd.py:102:21 @[ attention_bwd.py:253:40 ]
	global_load_u16 v12, v[2:3], off
	v_dual_mov_b32 v14, 0 :: v_dual_mov_b32 v15, 0
	s_and_b32 vcc_lo, exec_lo, s2
	s_cbranch_vccnz .LBB0_91
.LBB0_141:
	.loc	1 93 49                         ; attention_bwd.py:93:49 @[ attention_bwd.py:253:40 ]
	v_add_co_u32 v2, vcc_lo, v0, v179
	s_delay_alu instid0(VALU_DEP_1)
	v_add_co_ci_u32_e64 v3, null, v1, v180, vcc_lo
	.loc	1 102 21                        ; attention_bwd.py:102:21 @[ attention_bwd.py:253:40 ]
	global_load_u16 v15, v[2:3], off
	s_and_b32 vcc_lo, exec_lo, s2
	s_cbranch_vccnz .LBB0_92
.LBB0_142:
	.loc	1 93 49                         ; attention_bwd.py:93:49 @[ attention_bwd.py:253:40 ]
	v_add_co_u32 v2, vcc_lo, v0, v181
	s_delay_alu instid0(VALU_DEP_1)
	v_add_co_ci_u32_e64 v3, null, v1, v182, vcc_lo
	.loc	1 102 21                        ; attention_bwd.py:102:21 @[ attention_bwd.py:253:40 ]
	global_load_u16 v14, v[2:3], off
	v_dual_mov_b32 v16, 0 :: v_dual_mov_b32 v17, 0
	s_and_b32 vcc_lo, exec_lo, s2
	s_cbranch_vccnz .LBB0_93
.LBB0_143:
	.loc	1 93 49                         ; attention_bwd.py:93:49 @[ attention_bwd.py:253:40 ]
	v_add_co_u32 v2, vcc_lo, v0, v183
	s_delay_alu instid0(VALU_DEP_1)
	v_add_co_ci_u32_e64 v3, null, v1, v184, vcc_lo
	.loc	1 102 21                        ; attention_bwd.py:102:21 @[ attention_bwd.py:253:40 ]
	global_load_u16 v17, v[2:3], off
	s_and_b32 vcc_lo, exec_lo, s2
	s_cbranch_vccnz .LBB0_94
.LBB0_144:
	.loc	1 93 49                         ; attention_bwd.py:93:49 @[ attention_bwd.py:253:40 ]
	v_add_co_u32 v2, vcc_lo, v0, v185
	s_delay_alu instid0(VALU_DEP_1)
	v_add_co_ci_u32_e64 v3, null, v1, v186, vcc_lo
	.loc	1 102 21                        ; attention_bwd.py:102:21 @[ attention_bwd.py:253:40 ]
	global_load_u16 v16, v[2:3], off
	v_dual_mov_b32 v18, 0 :: v_dual_mov_b32 v19, 0
	s_and_b32 vcc_lo, exec_lo, s2
	s_cbranch_vccnz .LBB0_95
.LBB0_145:
	.loc	1 93 49                         ; attention_bwd.py:93:49 @[ attention_bwd.py:253:40 ]
	v_add_co_u32 v2, vcc_lo, v0, v187
	s_delay_alu instid0(VALU_DEP_1)
	v_add_co_ci_u32_e64 v3, null, v1, v188, vcc_lo
	.loc	1 102 21                        ; attention_bwd.py:102:21 @[ attention_bwd.py:253:40 ]
	global_load_u16 v19, v[2:3], off
	s_and_b32 vcc_lo, exec_lo, s2
	s_cbranch_vccz .LBB0_96
	s_branch .LBB0_97
.LBB0_146:
	.loc	1 94 49                         ; attention_bwd.py:94:49 @[ attention_bwd.py:253:40 ]
	s_waitcnt vmcnt(13)
	v_add_co_u32 v0, vcc_lo, v27, v175
	s_delay_alu instid0(VALU_DEP_1)
	v_add_co_ci_u32_e64 v1, null, v28, v176, vcc_lo
	.loc	1 103 21                        ; attention_bwd.py:103:21 @[ attention_bwd.py:253:40 ]
	global_load_u16 v21, v[0:1], off
	s_and_b32 vcc_lo, exec_lo, s2
	s_cbranch_vccnz .LBB0_99
.LBB0_147:
	.loc	1 94 49                         ; attention_bwd.py:94:49 @[ attention_bwd.py:253:40 ]
	s_waitcnt vmcnt(7)
	v_add_co_u32 v0, vcc_lo, v27, v46
	s_delay_alu instid0(VALU_DEP_1)
	v_add_co_ci_u32_e64 v1, null, v28, v47, vcc_lo
	.loc	1 103 21                        ; attention_bwd.py:103:21 @[ attention_bwd.py:253:40 ]
	global_load_u16 v20, v[0:1], off
	v_dual_mov_b32 v22, 0 :: v_dual_mov_b32 v23, 0
	s_and_b32 vcc_lo, exec_lo, s2
	s_cbranch_vccnz .LBB0_100
.LBB0_148:
	.loc	1 94 49                         ; attention_bwd.py:94:49 @[ attention_bwd.py:253:40 ]
	s_waitcnt vmcnt(6)
	v_add_co_u32 v0, vcc_lo, v27, v48
	s_delay_alu instid0(VALU_DEP_1)
	v_add_co_ci_u32_e64 v1, null, v28, v49, vcc_lo
	.loc	1 103 21                        ; attention_bwd.py:103:21 @[ attention_bwd.py:253:40 ]
	global_load_u16 v23, v[0:1], off
	s_and_b32 vcc_lo, exec_lo, s2
	s_cbranch_vccnz .LBB0_101
.LBB0_149:
	.loc	1 94 49                         ; attention_bwd.py:94:49 @[ attention_bwd.py:253:40 ]
	s_waitcnt vmcnt(5)
	v_add_co_u32 v0, vcc_lo, v27, v62
	s_delay_alu instid0(VALU_DEP_1)
	v_add_co_ci_u32_e64 v1, null, v28, v63, vcc_lo
	.loc	1 103 21                        ; attention_bwd.py:103:21 @[ attention_bwd.py:253:40 ]
	global_load_u16 v22, v[0:1], off
	v_dual_mov_b32 v24, 0 :: v_dual_mov_b32 v25, 0
	s_and_b32 vcc_lo, exec_lo, s2
	s_cbranch_vccnz .LBB0_102
.LBB0_150:
	.loc	1 94 49                         ; attention_bwd.py:94:49 @[ attention_bwd.py:253:40 ]
	s_waitcnt vmcnt(4)
	v_add_co_u32 v0, vcc_lo, v27, v64
	s_delay_alu instid0(VALU_DEP_1)
	v_add_co_ci_u32_e64 v1, null, v28, v65, vcc_lo
	.loc	1 103 21                        ; attention_bwd.py:103:21 @[ attention_bwd.py:253:40 ]
	global_load_u16 v25, v[0:1], off
	s_and_b32 vcc_lo, exec_lo, s2
	s_cbranch_vccnz .LBB0_103
.LBB0_151:
	.loc	1 94 49                         ; attention_bwd.py:94:49 @[ attention_bwd.py:253:40 ]
	s_waitcnt vmcnt(3)
	v_add_co_u32 v0, vcc_lo, v27, v66
	s_delay_alu instid0(VALU_DEP_1)
	v_add_co_ci_u32_e64 v1, null, v28, v67, vcc_lo
	.loc	1 103 21                        ; attention_bwd.py:103:21 @[ attention_bwd.py:253:40 ]
	global_load_u16 v24, v[0:1], off
	v_dual_mov_b32 v26, 0 :: v_dual_mov_b32 v29, 0
	s_and_b32 vcc_lo, exec_lo, s2
	s_cbranch_vccnz .LBB0_104
.LBB0_152:
	.loc	1 94 49                         ; attention_bwd.py:94:49 @[ attention_bwd.py:253:40 ]
	s_waitcnt vmcnt(2)
	v_add_co_u32 v0, vcc_lo, v27, v68
	s_delay_alu instid0(VALU_DEP_1)
	v_add_co_ci_u32_e64 v1, null, v28, v69, vcc_lo
	.loc	1 103 21                        ; attention_bwd.py:103:21 @[ attention_bwd.py:253:40 ]
	global_load_u16 v29, v[0:1], off
	s_and_b32 vcc_lo, exec_lo, s2
	s_cbranch_vccz .LBB0_105
	s_branch .LBB0_106
.Ltmp32:
	.section	.rodata,"a",@progbits
	.p2align	6, 0x0
	.amdhsa_kernel _attn_bwd
		.amdhsa_group_segment_fixed_size 0
		.amdhsa_private_segment_fixed_size 2500
		.amdhsa_kernarg_size 120
		.amdhsa_user_sgpr_count 14
		.amdhsa_user_sgpr_dispatch_ptr 0
		.amdhsa_user_sgpr_queue_ptr 0
		.amdhsa_user_sgpr_kernarg_segment_ptr 1
		.amdhsa_user_sgpr_dispatch_id 0
		.amdhsa_user_sgpr_private_segment_size 0
		.amdhsa_wavefront_size32 1
		.amdhsa_uses_dynamic_stack 0
		.amdhsa_enable_private_segment 1
		.amdhsa_system_sgpr_workgroup_id_x 1
		.amdhsa_system_sgpr_workgroup_id_y 0
		.amdhsa_system_sgpr_workgroup_id_z 1
		.amdhsa_system_sgpr_workgroup_info 0
		.amdhsa_system_vgpr_workitem_id 0
		.amdhsa_next_free_vgpr 256
		.amdhsa_next_free_sgpr 50
		.amdhsa_reserve_vcc 1
		.amdhsa_float_round_mode_32 0
		.amdhsa_float_round_mode_16_64 0
		.amdhsa_float_denorm_mode_32 3
		.amdhsa_float_denorm_mode_16_64 3
		.amdhsa_dx10_clamp 1
		.amdhsa_ieee_mode 1
		.amdhsa_fp16_overflow 0
		.amdhsa_workgroup_processor_mode 1
		.amdhsa_memory_ordered 1
		.amdhsa_forward_progress 1
		.amdhsa_shared_vgpr_count 0
		.amdhsa_inst_pref_size 63
		.amdhsa_exception_fp_ieee_invalid_op 0
		.amdhsa_exception_fp_denorm_src 0
		.amdhsa_exception_fp_ieee_div_zero 0
		.amdhsa_exception_fp_ieee_overflow 0
		.amdhsa_exception_fp_ieee_underflow 0
		.amdhsa_exception_fp_ieee_inexact 0
		.amdhsa_exception_int_div_zero 0
	.end_amdhsa_kernel
	.text
.Lfunc_end0:
	.size	_attn_bwd, .Lfunc_end0-_attn_bwd
	.cfi_endproc
                                        ; -- End function
	.set _attn_bwd.num_vgpr, 256
	.set _attn_bwd.num_agpr, 0
	.set _attn_bwd.numbered_sgpr, 50
	.set _attn_bwd.num_named_barrier, 0
	.set _attn_bwd.private_seg_size, 2500
	.set _attn_bwd.uses_vcc, 1
	.set _attn_bwd.uses_flat_scratch, 1
	.set _attn_bwd.has_dyn_sized_stack, 0
	.set _attn_bwd.has_recursion, 0
	.set _attn_bwd.has_indirect_call, 0
	.section	.AMDGPU.csdata,"",@progbits
; Kernel info:
; codeLenInByte = 64836
; TotalNumSgprs: 52
; NumVgprs: 256
; ScratchSize: 2500
; MemoryBound: 0
; FloatMode: 240
; IeeeMode: 1
; LDSByteSize: 0 bytes/workgroup (compile time only)
; SGPRBlocks: 0
; VGPRBlocks: 31
; NumSGPRsForWavesPerEU: 52
; NumVGPRsForWavesPerEU: 256
; Occupancy: 5
; WaveLimiterHint : 0
; COMPUTE_PGM_RSRC2:SCRATCH_EN: 1
; COMPUTE_PGM_RSRC2:USER_SGPR: 14
; COMPUTE_PGM_RSRC2:TRAP_HANDLER: 0
; COMPUTE_PGM_RSRC2:TGID_X_EN: 1
; COMPUTE_PGM_RSRC2:TGID_Y_EN: 0
; COMPUTE_PGM_RSRC2:TGID_Z_EN: 1
; COMPUTE_PGM_RSRC2:TIDIG_COMP_CNT: 0
	.text
	.p2alignl 7, 3214868480
	.fill 96, 4, 3214868480
	.section	.AMDGPU.gpr_maximums,"",@progbits
	.set amdgpu.max_num_vgpr, 0
	.set amdgpu.max_num_agpr, 0
	.set amdgpu.max_num_sgpr, 0
	.set amdgpu.max_num_named_barrier, 0
	.text
	.section	.debug_abbrev,"",@progbits
	.byte	1                               ; Abbreviation Code
	.byte	17                              ; DW_TAG_compile_unit
	.byte	1                               ; DW_CHILDREN_yes
	.byte	37                              ; DW_AT_producer
	.byte	14                              ; DW_FORM_strp
	.byte	19                              ; DW_AT_language
	.byte	5                               ; DW_FORM_data2
	.byte	3                               ; DW_AT_name
	.byte	14                              ; DW_FORM_strp
	.byte	16                              ; DW_AT_stmt_list
	.byte	23                              ; DW_FORM_sec_offset
	.byte	27                              ; DW_AT_comp_dir
	.byte	14                              ; DW_FORM_strp
	.byte	17                              ; DW_AT_low_pc
	.byte	1                               ; DW_FORM_addr
	.byte	18                              ; DW_AT_high_pc
	.byte	6                               ; DW_FORM_data4
	.byte	0                               ; EOM(1)
	.byte	0                               ; EOM(2)
	.byte	2                               ; Abbreviation Code
	.byte	46                              ; DW_TAG_subprogram
	.byte	0                               ; DW_CHILDREN_no
	.byte	3                               ; DW_AT_name
	.byte	14                              ; DW_FORM_strp
	.byte	32                              ; DW_AT_inline
	.byte	11                              ; DW_FORM_data1
	.byte	0                               ; EOM(1)
	.byte	0                               ; EOM(2)
	.byte	3                               ; Abbreviation Code
	.byte	46                              ; DW_TAG_subprogram
	.byte	1                               ; DW_CHILDREN_yes
	.byte	17                              ; DW_AT_low_pc
	.byte	1                               ; DW_FORM_addr
	.byte	18                              ; DW_AT_high_pc
	.byte	6                               ; DW_FORM_data4
	.byte	49                              ; DW_AT_abstract_origin
	.byte	19                              ; DW_FORM_ref4
	.byte	0                               ; EOM(1)
	.byte	0                               ; EOM(2)
	.byte	4                               ; Abbreviation Code
	.byte	29                              ; DW_TAG_inlined_subroutine
	.byte	0                               ; DW_CHILDREN_no
	.byte	49                              ; DW_AT_abstract_origin
	.byte	19                              ; DW_FORM_ref4
	.byte	85                              ; DW_AT_ranges
	.byte	23                              ; DW_FORM_sec_offset
	.byte	88                              ; DW_AT_call_file
	.byte	11                              ; DW_FORM_data1
	.byte	89                              ; DW_AT_call_line
	.byte	11                              ; DW_FORM_data1
	.byte	87                              ; DW_AT_call_column
	.byte	11                              ; DW_FORM_data1
	.byte	0                               ; EOM(1)
	.byte	0                               ; EOM(2)
	;; [unrolled: 1-line block ×3, first 2 shown]
	.section	.debug_info,"",@progbits
.Lcu_begin0:
	.long	.Ldebug_info_end0-.Ldebug_info_start0 ; Length of Unit
.Ldebug_info_start0:
	.short	4                               ; DWARF version number
	.long	.debug_abbrev                   ; Offset Into Abbrev. Section
	.byte	8                               ; Address Size (in bytes)
	.byte	1                               ; Abbrev [1] 0xb:0x50 DW_TAG_compile_unit
	.long	.Linfo_string0                  ; DW_AT_producer
	.short	2                               ; DW_AT_language
	.long	.Linfo_string1                  ; DW_AT_name
	.long	.Lline_table_start0             ; DW_AT_stmt_list
	.long	.Linfo_string2                  ; DW_AT_comp_dir
	.quad	.Lfunc_begin0                   ; DW_AT_low_pc
	.long	.Lfunc_end0-.Lfunc_begin0       ; DW_AT_high_pc
	.byte	2                               ; Abbrev [2] 0x2a:0x6 DW_TAG_subprogram
	.long	.Linfo_string3                  ; DW_AT_name
	.byte	1                               ; DW_AT_inline
	.byte	3                               ; Abbrev [3] 0x30:0x2a DW_TAG_subprogram
	.quad	.Lfunc_begin0                   ; DW_AT_low_pc
	.long	.Lfunc_end0-.Lfunc_begin0       ; DW_AT_high_pc
	.long	42                              ; DW_AT_abstract_origin
	.byte	4                               ; Abbrev [4] 0x41:0xc DW_TAG_inlined_subroutine
	.long	42                              ; DW_AT_abstract_origin
	.long	.Ldebug_ranges0                 ; DW_AT_ranges
	.byte	1                               ; DW_AT_call_file
	.byte	200                             ; DW_AT_call_line
	.byte	26                              ; DW_AT_call_column
	.byte	4                               ; Abbrev [4] 0x4d:0xc DW_TAG_inlined_subroutine
	.long	42                              ; DW_AT_abstract_origin
	.long	.Ldebug_ranges1                 ; DW_AT_ranges
	.byte	1                               ; DW_AT_call_file
	.byte	253                             ; DW_AT_call_line
	.byte	40                              ; DW_AT_call_column
	.byte	0                               ; End Of Children Mark
	.byte	0                               ; End Of Children Mark
.Ldebug_info_end0:
	.section	.debug_ranges,"",@progbits
.Ldebug_ranges0:
	.quad	.Ltmp1-.Lfunc_begin0
	.quad	.Ltmp2-.Lfunc_begin0
	;; [unrolled: 1-line block ×26, first 2 shown]
	.quad	0
	.quad	0
.Ldebug_ranges1:
	.quad	.Ltmp27-.Lfunc_begin0
	.quad	.Ltmp28-.Lfunc_begin0
	;; [unrolled: 1-line block ×6, first 2 shown]
	.quad	0
	.quad	0
	.section	.debug_str,"MS",@progbits,1
.Linfo_string0:
	.asciz	"triton"                        ; string offset=0
.Linfo_string1:
	.asciz	"attention_bwd.py"              ; string offset=7
.Linfo_string2:
	.asciz	"/root/src/amdgpu-assembly/repos/triton-lang__triton-aot" ; string offset=24
.Linfo_string3:
	.asciz	"_attn_bwd"                     ; string offset=80
	.section	".note.GNU-stack","",@progbits
	.amdgpu_metadata
---
amdhsa.kernels:
  - .args:
      - .address_space:  global
        .offset:         0
        .size:           8
        .value_kind:     global_buffer
      - .address_space:  global
        .offset:         8
        .size:           8
        .value_kind:     global_buffer
      - .address_space:  global
        .offset:         16
        .size:           8
        .value_kind:     global_buffer
      - .offset:         24
        .size:           4
        .value_kind:     by_value
      - .address_space:  global
        .offset:         32
        .size:           8
        .value_kind:     global_buffer
      - .address_space:  global
        .offset:         40
        .size:           8
        .value_kind:     global_buffer
      - .address_space:  global
        .offset:         48
        .size:           8
        .value_kind:     global_buffer
      - .address_space:  global
        .offset:         56
        .size:           8
        .value_kind:     global_buffer
      - .address_space:  global
        .offset:         64
        .size:           8
        .value_kind:     global_buffer
      - .address_space:  global
        .offset:         72
        .size:           8
        .value_kind:     global_buffer
      - .offset:         80
        .size:           4
        .value_kind:     by_value
      - .offset:         84
        .size:           4
        .value_kind:     by_value
      - .offset:         88
        .size:           4
        .value_kind:     by_value
      - .offset:         92
        .size:           4
        .value_kind:     by_value
      - .offset:         96
        .size:           4
        .value_kind:     by_value
      - .offset:         100
        .size:           4
        .value_kind:     by_value
      - .address_space:  global
        .offset:         104
        .size:           8
        .value_kind:     global_buffer
      - .address_space:  global
        .offset:         112
        .size:           8
        .value_kind:     global_buffer
    .group_segment_fixed_size: 0
    .kernarg_segment_align: 8
    .kernarg_segment_size: 120
    .max_flat_workgroup_size: 256
    .name:           _attn_bwd
    .private_segment_fixed_size: 2500
    .sgpr_count:     52
    .sgpr_spill_count: 0
    .symbol:         _attn_bwd.kd
    .uniform_work_group_size: 1
    .uses_dynamic_stack: false
    .vgpr_count:     256
    .vgpr_spill_count: 1024
    .wavefront_size: 32
    .workgroup_processor_mode: 1
amdhsa.target:   amdgcn-amd-amdhsa--gfx1100
amdhsa.version:
  - 1
  - 2
...

	.end_amdgpu_metadata
	.section	.debug_line,"",@progbits
.Lline_table_start0:
